;; amdgpu-corpus repo=ROCm/rocFFT kind=compiled arch=gfx906 opt=O3
	.text
	.amdgcn_target "amdgcn-amd-amdhsa--gfx906"
	.amdhsa_code_object_version 6
	.protected	bluestein_single_fwd_len1617_dim1_sp_op_CI_CI ; -- Begin function bluestein_single_fwd_len1617_dim1_sp_op_CI_CI
	.globl	bluestein_single_fwd_len1617_dim1_sp_op_CI_CI
	.p2align	8
	.type	bluestein_single_fwd_len1617_dim1_sp_op_CI_CI,@function
bluestein_single_fwd_len1617_dim1_sp_op_CI_CI: ; @bluestein_single_fwd_len1617_dim1_sp_op_CI_CI
; %bb.0:
	s_load_dwordx4 s[8:11], s[4:5], 0x28
	v_mul_u32_u24_e32 v1, 0x11c, v0
	v_add_u32_sdwa v66, s6, v1 dst_sel:DWORD dst_unused:UNUSED_PAD src0_sel:DWORD src1_sel:WORD_1
	v_mov_b32_e32 v67, 0
	s_waitcnt lgkmcnt(0)
	v_cmp_gt_u64_e32 vcc, s[8:9], v[66:67]
	s_and_saveexec_b64 s[0:1], vcc
	s_cbranch_execz .LBB0_23
; %bb.1:
	s_load_dwordx4 s[12:15], s[4:5], 0x18
	s_movk_i32 s6, 0xe7
	v_mul_lo_u16_sdwa v1, v1, s6 dst_sel:DWORD dst_unused:UNUSED_PAD src0_sel:WORD_1 src1_sel:DWORD
	v_sub_u16_e32 v84, v0, v1
	v_lshlrev_b32_e32 v83, 3, v84
	s_waitcnt lgkmcnt(0)
	s_load_dwordx4 s[0:3], s[12:13], 0x0
	s_waitcnt lgkmcnt(0)
	v_mad_u64_u32 v[0:1], s[6:7], s2, v66, 0
	v_mad_u64_u32 v[2:3], s[6:7], s0, v84, 0
	s_load_dwordx2 s[12:13], s[4:5], 0x0
	s_mul_i32 s6, s1, 0x21b
	v_mad_u64_u32 v[4:5], s[2:3], s3, v66, v[1:2]
	s_mul_hi_u32 s7, s0, 0x21b
	s_add_i32 s7, s7, s6
	v_mad_u64_u32 v[5:6], s[2:3], s1, v84, v[3:4]
	v_mov_b32_e32 v1, v4
	v_lshlrev_b64 v[0:1], 3, v[0:1]
	v_mov_b32_e32 v6, s11
	v_mov_b32_e32 v3, v5
	v_add_co_u32_e32 v4, vcc, s10, v0
	v_addc_co_u32_e32 v5, vcc, v6, v1, vcc
	v_lshlrev_b64 v[0:1], 3, v[2:3]
	s_waitcnt lgkmcnt(0)
	v_mov_b32_e32 v2, s13
	v_add_co_u32_e32 v0, vcc, v4, v0
	v_add_co_u32_e64 v64, s[2:3], s12, v83
	s_mul_i32 s6, s0, 0x21b
	v_addc_co_u32_e32 v1, vcc, v5, v1, vcc
	v_addc_co_u32_e64 v65, vcc, 0, v2, s[2:3]
	s_lshl_b64 s[16:17], s[6:7], 3
	v_mov_b32_e32 v16, s17
	v_add_co_u32_e32 v2, vcc, s16, v0
	v_addc_co_u32_e32 v3, vcc, v1, v16, vcc
	s_movk_i32 s6, 0x1000
	global_load_dwordx2 v[77:78], v83, s[12:13]
	global_load_dwordx2 v[4:5], v[0:1], off
	global_load_dwordx2 v[6:7], v[2:3], off
	v_add_co_u32_e32 v0, vcc, s6, v64
	v_addc_co_u32_e32 v1, vcc, 0, v65, vcc
	v_add_co_u32_e32 v2, vcc, s16, v2
	v_addc_co_u32_e32 v3, vcc, v3, v16, vcc
	s_movk_i32 s6, 0x2000
	v_add_co_u32_e32 v10, vcc, s6, v64
	s_mul_hi_u32 s6, s0, 0xfffffcb1
	s_mulk_i32 s1, 0xfcb1
	s_sub_i32 s6, s6, s0
	s_add_i32 s1, s6, s1
	s_mulk_i32 s0, 0xfcb1
	v_addc_co_u32_e32 v11, vcc, 0, v65, vcc
	s_lshl_b64 s[18:19], s[0:1], 3
	global_load_dwordx2 v[75:76], v[0:1], off offset:216
	global_load_dwordx2 v[8:9], v[2:3], off
	v_mov_b32_e32 v12, s19
	v_add_co_u32_e32 v2, vcc, s18, v2
	v_addc_co_u32_e32 v3, vcc, v3, v12, vcc
	global_load_dwordx2 v[71:72], v[10:11], off offset:432
	global_load_dwordx2 v[12:13], v[2:3], off
	global_load_dwordx2 v[73:74], v83, s[12:13] offset:1848
	v_add_co_u32_e32 v2, vcc, s16, v2
	v_addc_co_u32_e32 v3, vcc, v3, v16, vcc
	global_load_dwordx2 v[14:15], v[2:3], off
	global_load_dwordx2 v[69:70], v[0:1], off offset:2064
	v_add_co_u32_e32 v2, vcc, s16, v2
	v_addc_co_u32_e32 v3, vcc, v3, v16, vcc
	global_load_dwordx2 v[67:68], v[10:11], off offset:2280
	global_load_dwordx2 v[16:17], v[2:3], off
	s_load_dwordx2 s[6:7], s[4:5], 0x38
	s_load_dwordx4 s[8:11], s[14:15], 0x0
	s_movk_i32 s0, 0x4d
	v_cmp_gt_u16_e64 s[0:1], s0, v84
	s_waitcnt vmcnt(10)
	v_mul_f32_e32 v10, v5, v78
	v_mul_f32_e32 v11, v4, v78
	v_fmac_f32_e32 v10, v4, v77
	v_fma_f32 v11, v5, v77, -v11
	s_waitcnt vmcnt(8)
	v_mul_f32_e32 v4, v7, v76
	v_mul_f32_e32 v5, v6, v76
	v_fmac_f32_e32 v4, v6, v75
	v_fma_f32 v5, v7, v75, -v5
	ds_write_b64 v83, v[4:5] offset:4312
	s_waitcnt vmcnt(6)
	v_mul_f32_e32 v6, v9, v72
	v_mul_f32_e32 v7, v8, v72
	s_waitcnt vmcnt(4)
	v_mul_f32_e32 v4, v13, v74
	v_mul_f32_e32 v5, v12, v74
	v_fmac_f32_e32 v6, v8, v71
	v_fma_f32 v7, v9, v71, -v7
	v_fmac_f32_e32 v4, v12, v73
	v_fma_f32 v5, v13, v73, -v5
	ds_write_b64 v83, v[6:7] offset:8624
	ds_write2_b64 v83, v[10:11], v[4:5] offset1:231
	s_waitcnt vmcnt(2)
	v_mul_f32_e32 v4, v15, v70
	v_mul_f32_e32 v5, v14, v70
	v_fmac_f32_e32 v4, v14, v69
	v_fma_f32 v5, v15, v69, -v5
	ds_write_b64 v83, v[4:5] offset:6160
	s_waitcnt vmcnt(0)
	v_mul_f32_e32 v4, v17, v68
	v_mul_f32_e32 v5, v16, v68
	v_fmac_f32_e32 v4, v16, v67
	v_fma_f32 v5, v17, v67, -v5
	ds_write_b64 v83, v[4:5] offset:10472
	s_and_saveexec_b64 s[14:15], s[0:1]
	s_cbranch_execz .LBB0_3
; %bb.2:
	v_mov_b32_e32 v4, s19
	v_add_co_u32_e32 v2, vcc, s18, v2
	v_addc_co_u32_e32 v3, vcc, v3, v4, vcc
	global_load_dwordx2 v[4:5], v[2:3], off
	v_mov_b32_e32 v12, s17
	v_add_co_u32_e32 v2, vcc, s16, v2
	v_addc_co_u32_e32 v3, vcc, v3, v12, vcc
	global_load_dwordx2 v[6:7], v[2:3], off
	global_load_dwordx2 v[8:9], v[64:65], off offset:3696
	global_load_dwordx2 v[10:11], v[0:1], off offset:3912
	v_add_co_u32_e32 v0, vcc, s16, v2
	v_addc_co_u32_e32 v1, vcc, v3, v12, vcc
	v_add_co_u32_e32 v2, vcc, 0x3000, v64
	v_addc_co_u32_e32 v3, vcc, 0, v65, vcc
	global_load_dwordx2 v[12:13], v[2:3], off offset:32
	global_load_dwordx2 v[14:15], v[0:1], off
	s_waitcnt vmcnt(3)
	v_mul_f32_e32 v0, v5, v9
	v_mul_f32_e32 v1, v4, v9
	v_fmac_f32_e32 v0, v4, v8
	v_fma_f32 v1, v5, v8, -v1
	s_waitcnt vmcnt(2)
	v_mul_f32_e32 v2, v7, v11
	v_mul_f32_e32 v3, v6, v11
	ds_write_b64 v83, v[0:1] offset:3696
	v_fmac_f32_e32 v2, v6, v10
	v_fma_f32 v3, v7, v10, -v3
	ds_write_b64 v83, v[2:3] offset:8008
	s_waitcnt vmcnt(0)
	v_mul_f32_e32 v0, v15, v13
	v_mul_f32_e32 v1, v14, v13
	v_fmac_f32_e32 v0, v14, v12
	v_fma_f32 v1, v15, v12, -v1
	ds_write_b64 v83, v[0:1] offset:12320
.LBB0_3:
	s_or_b64 exec, exec, s[14:15]
	v_add_u32_e32 v4, 0x1080, v83
	v_add_u32_e32 v8, 0x2100, v83
	s_load_dwordx2 s[14:15], s[4:5], 0x8
	s_waitcnt lgkmcnt(0)
	s_barrier
	ds_read2_b64 v[0:3], v83 offset1:231
	ds_read2_b64 v[4:7], v4 offset0:11 offset1:242
	ds_read2_b64 v[8:11], v8 offset0:22 offset1:253
                                        ; implicit-def: $vgpr12
                                        ; implicit-def: $vgpr14
                                        ; implicit-def: $vgpr16
	s_and_saveexec_b64 s[4:5], s[0:1]
	s_cbranch_execz .LBB0_5
; %bb.4:
	ds_read_b64 v[12:13], v83 offset:3696
	ds_read_b64 v[14:15], v83 offset:8008
	;; [unrolled: 1-line block ×3, first 2 shown]
.LBB0_5:
	s_or_b64 exec, exec, s[4:5]
	s_waitcnt lgkmcnt(0)
	v_add_f32_e32 v19, v4, v8
	v_add_f32_e32 v18, v0, v4
	v_fma_f32 v0, -0.5, v19, v0
	v_sub_f32_e32 v19, v5, v9
	v_mov_b32_e32 v20, v0
	v_fmac_f32_e32 v20, 0x3f5db3d7, v19
	v_fmac_f32_e32 v0, 0xbf5db3d7, v19
	v_add_f32_e32 v19, v1, v5
	v_add_f32_e32 v5, v5, v9
	v_fma_f32 v1, -0.5, v5, v1
	v_sub_f32_e32 v4, v4, v8
	v_mov_b32_e32 v21, v1
	v_add_f32_e32 v5, v6, v10
	v_fmac_f32_e32 v21, 0xbf5db3d7, v4
	v_fmac_f32_e32 v1, 0x3f5db3d7, v4
	v_add_f32_e32 v4, v2, v6
	v_fma_f32 v2, -0.5, v5, v2
	v_add_f32_e32 v18, v18, v8
	v_sub_f32_e32 v5, v7, v11
	v_mov_b32_e32 v8, v2
	v_fmac_f32_e32 v8, 0x3f5db3d7, v5
	v_fmac_f32_e32 v2, 0xbf5db3d7, v5
	v_add_f32_e32 v5, v3, v7
	v_add_f32_e32 v7, v7, v11
	v_fmac_f32_e32 v3, -0.5, v7
	v_add_f32_e32 v19, v19, v9
	v_sub_f32_e32 v6, v6, v10
	v_mov_b32_e32 v9, v3
	v_fmac_f32_e32 v9, 0xbf5db3d7, v6
	v_fmac_f32_e32 v3, 0x3f5db3d7, v6
	v_add_f32_e32 v6, v14, v16
	v_fma_f32 v52, -0.5, v6, v12
	v_sub_f32_e32 v6, v15, v17
	v_mov_b32_e32 v50, v52
	v_fmac_f32_e32 v50, 0x3f5db3d7, v6
	v_fmac_f32_e32 v52, 0xbf5db3d7, v6
	v_add_f32_e32 v6, v15, v17
	v_fma_f32 v53, -0.5, v6, v13
	v_sub_f32_e32 v6, v14, v16
	v_mov_b32_e32 v51, v53
	v_fmac_f32_e32 v51, 0xbf5db3d7, v6
	v_fmac_f32_e32 v53, 0x3f5db3d7, v6
	v_mul_lo_u16_e32 v6, 3, v84
	v_add_u32_e32 v22, 0xe7, v84
	v_lshlrev_b32_e32 v85, 3, v6
	v_add_co_u32_e32 v23, vcc, 0x1ce, v84
	s_barrier
	ds_write2_b64 v85, v[18:19], v[20:21] offset1:1
	ds_write_b64 v85, v[0:1] offset:16
	v_mul_u32_u24_e32 v0, 3, v22
	v_add_f32_e32 v4, v4, v10
	v_add_f32_e32 v5, v5, v11
	v_lshlrev_b32_e32 v87, 3, v0
	v_mul_u32_u24_e32 v86, 3, v23
	ds_write2_b64 v87, v[4:5], v[8:9] offset1:1
	ds_write_b64 v87, v[2:3] offset:16
	s_and_saveexec_b64 s[4:5], s[0:1]
	s_cbranch_execz .LBB0_7
; %bb.6:
	v_add_f32_e32 v0, v13, v15
	v_add_f32_e32 v1, v0, v17
	;; [unrolled: 1-line block ×4, first 2 shown]
	v_lshlrev_b32_e32 v2, 3, v86
	ds_write2_b64 v2, v[0:1], v[50:51] offset1:1
	ds_write_b64 v2, v[52:53] offset:16
.LBB0_7:
	s_or_b64 exec, exec, s[4:5]
	s_movk_i32 s4, 0xab
	v_mul_lo_u16_sdwa v0, v84, s4 dst_sel:DWORD dst_unused:UNUSED_PAD src0_sel:BYTE_0 src1_sel:DWORD
	v_lshrrev_b16_e32 v26, 9, v0
	v_mul_lo_u16_e32 v0, 3, v26
	v_sub_u16_e32 v0, v84, v0
	v_and_b32_e32 v27, 0xff, v0
	v_mul_u32_u24_e32 v0, 6, v27
	v_lshlrev_b32_e32 v12, 3, v0
	s_waitcnt lgkmcnt(0)
	s_barrier
	global_load_dwordx4 v[8:11], v12, s[14:15]
	global_load_dwordx4 v[4:7], v12, s[14:15] offset:16
	global_load_dwordx4 v[0:3], v12, s[14:15] offset:32
	v_add_u32_e32 v28, 0xe00, v83
	v_add_u32_e32 v29, 0x1c80, v83
	ds_read2_b64 v[12:15], v83 offset1:231
	ds_read_b64 v[24:25], v83 offset:11088
	ds_read2_b64 v[16:19], v28 offset0:14 offset1:245
	ds_read2_b64 v[20:23], v29 offset0:12 offset1:243
	s_mov_b32 s5, 0x3f5ff5aa
	s_mov_b32 s12, 0x3f3bfb3b
	;; [unrolled: 1-line block ×4, first 2 shown]
	v_mul_u32_u24_e32 v26, 21, v26
	v_add_lshl_u32 v88, v26, v27, 3
	s_movk_i32 s17, 0x87
	s_waitcnt vmcnt(0) lgkmcnt(0)
	s_barrier
	s_waitcnt lgkmcnt(0)
                                        ; implicit-def: $vgpr79
	v_mul_f32_e32 v30, v15, v9
	v_mul_f32_e32 v31, v14, v9
	;; [unrolled: 1-line block ×12, first 2 shown]
	v_fma_f32 v16, v16, v10, -v32
	v_fmac_f32_e32 v33, v17, v10
	v_fma_f32 v17, v18, v4, -v34
	v_fmac_f32_e32 v35, v19, v4
	v_fma_f32 v14, v14, v8, -v30
	v_fmac_f32_e32 v31, v15, v8
	v_fma_f32 v18, v22, v0, -v38
	v_fmac_f32_e32 v39, v23, v0
	v_fma_f32 v19, v24, v2, -v40
	v_fmac_f32_e32 v41, v25, v2
	v_fma_f32 v15, v20, v6, -v36
	v_fmac_f32_e32 v37, v21, v6
	v_add_f32_e32 v20, v14, v19
	v_add_f32_e32 v21, v31, v41
	v_add_f32_e32 v22, v16, v18
	v_add_f32_e32 v23, v33, v39
	v_sub_f32_e32 v14, v14, v19
	v_sub_f32_e32 v19, v31, v41
	v_add_f32_e32 v24, v17, v15
	v_add_f32_e32 v25, v35, v37
	;; [unrolled: 1-line block ×4, first 2 shown]
	v_sub_f32_e32 v16, v16, v18
	v_sub_f32_e32 v18, v33, v39
	;; [unrolled: 1-line block ×10, first 2 shown]
	v_add_f32_e32 v24, v24, v30
	v_add_f32_e32 v25, v25, v31
	;; [unrolled: 1-line block ×4, first 2 shown]
	v_sub_f32_e32 v36, v15, v16
	v_sub_f32_e32 v37, v17, v18
	v_add_f32_e32 v12, v12, v24
	v_add_f32_e32 v13, v13, v25
	v_sub_f32_e32 v15, v14, v15
	v_sub_f32_e32 v17, v19, v17
	;; [unrolled: 1-line block ×4, first 2 shown]
	v_add_f32_e32 v14, v34, v14
	v_add_f32_e32 v19, v35, v19
	v_mul_f32_e32 v20, 0x3f4a47b2, v20
	v_mul_f32_e32 v21, 0x3f4a47b2, v21
	v_mul_f32_e32 v30, 0x3d64c772, v22
	v_mul_f32_e32 v34, 0xbf08b237, v36
	v_mul_f32_e32 v35, 0xbf08b237, v37
	v_mov_b32_e32 v38, v12
	v_mov_b32_e32 v39, v13
	v_mul_f32_e32 v31, 0x3d64c772, v23
	v_mul_f32_e32 v36, 0x3f5ff5aa, v16
	;; [unrolled: 1-line block ×3, first 2 shown]
	v_fma_f32 v30, v32, s12, -v30
	v_fma_f32 v32, v32, s4, -v20
	v_fmac_f32_e32 v38, 0xbf955555, v24
	v_fmac_f32_e32 v39, 0xbf955555, v25
	;; [unrolled: 1-line block ×3, first 2 shown]
	v_fma_f32 v22, v33, s4, -v21
	v_fmac_f32_e32 v21, 0x3d64c772, v23
	v_fma_f32 v23, v16, s5, -v34
	v_fmac_f32_e32 v34, 0x3eae86e6, v15
	;; [unrolled: 2-line block ×3, first 2 shown]
	v_fma_f32 v31, v33, s12, -v31
	v_fma_f32 v25, v15, s16, -v36
	v_fma_f32 v33, v17, s16, -v37
	v_add_f32_e32 v36, v20, v38
	v_add_f32_e32 v37, v21, v39
	v_fmac_f32_e32 v34, 0x3ee1c552, v14
	v_fmac_f32_e32 v35, 0x3ee1c552, v19
	v_add_f32_e32 v20, v30, v38
	v_add_f32_e32 v21, v31, v39
	;; [unrolled: 1-line block ×4, first 2 shown]
	v_fmac_f32_e32 v23, 0x3ee1c552, v14
	v_fmac_f32_e32 v24, 0x3ee1c552, v19
	;; [unrolled: 1-line block ×4, first 2 shown]
	v_add_f32_e32 v14, v35, v36
	v_sub_f32_e32 v15, v37, v34
	v_add_f32_e32 v16, v33, v30
	v_sub_f32_e32 v17, v31, v25
	v_sub_f32_e32 v18, v20, v24
	v_add_f32_e32 v19, v23, v21
	v_add_f32_e32 v20, v24, v20
	v_sub_f32_e32 v21, v21, v23
	v_sub_f32_e32 v22, v30, v33
	v_add_f32_e32 v23, v25, v31
	v_sub_f32_e32 v24, v36, v35
	v_add_f32_e32 v25, v34, v37
	ds_write2_b64 v88, v[12:13], v[14:15] offset1:3
	ds_write2_b64 v88, v[16:17], v[18:19] offset0:6 offset1:9
	ds_write2_b64 v88, v[20:21], v[22:23] offset0:12 offset1:15
	ds_write_b64 v88, v[24:25] offset:144
	v_mul_lo_u16_sdwa v12, v84, s17 dst_sel:DWORD dst_unused:UNUSED_PAD src0_sel:BYTE_0 src1_sel:DWORD
	v_sub_u16_sdwa v13, v84, v12 dst_sel:DWORD dst_unused:UNUSED_PAD src0_sel:DWORD src1_sel:BYTE_1
	v_lshrrev_b16_e32 v13, 1, v13
	v_and_b32_e32 v13, 0x7f, v13
	v_add_u16_sdwa v12, v13, v12 dst_sel:DWORD dst_unused:UNUSED_PAD src0_sel:DWORD src1_sel:BYTE_1
	v_lshrrev_b16_e32 v12, 4, v12
	v_and_b32_e32 v38, 15, v12
	v_mul_lo_u16_e32 v12, 21, v38
	v_sub_u16_e32 v12, v84, v12
	v_and_b32_e32 v39, 0xff, v12
	v_mad_u64_u32 v[24:25], s[18:19], v39, 48, s[14:15]
	s_waitcnt lgkmcnt(0)
	s_barrier
	global_load_dwordx4 v[20:23], v[24:25], off offset:144
	global_load_dwordx4 v[16:19], v[24:25], off offset:160
	;; [unrolled: 1-line block ×3, first 2 shown]
	ds_read2_b64 v[24:27], v28 offset0:14 offset1:245
	ds_read2_b64 v[28:31], v29 offset0:12 offset1:243
	ds_read_b64 v[36:37], v83 offset:11088
	ds_read2_b64 v[32:35], v83 offset1:231
	s_waitcnt vmcnt(0) lgkmcnt(0)
	s_barrier
	v_mul_f32_e32 v40, v25, v23
	v_mul_f32_e32 v43, v26, v17
	v_mul_f32_e32 v46, v28, v19
	v_mul_f32_e32 v45, v31, v13
	v_mul_f32_e32 v47, v30, v13
	v_mul_f32_e32 v41, v24, v23
	v_mul_f32_e32 v42, v27, v17
	v_mul_f32_e32 v44, v29, v19
	v_mul_f32_e32 v48, v37, v15
	v_fmac_f32_e32 v43, v27, v16
	v_fmac_f32_e32 v46, v29, v18
	v_fma_f32 v27, v30, v12, -v45
	v_fmac_f32_e32 v47, v31, v12
	v_mul_f32_e32 v29, v36, v15
	v_mul_f32_e32 v30, v35, v21
	;; [unrolled: 1-line block ×3, first 2 shown]
	v_fma_f32 v24, v24, v22, -v40
	v_fmac_f32_e32 v41, v25, v22
	v_fma_f32 v25, v26, v16, -v42
	v_fma_f32 v26, v28, v18, -v44
	;; [unrolled: 1-line block ×3, first 2 shown]
	v_fmac_f32_e32 v29, v37, v14
	v_fma_f32 v30, v34, v20, -v30
	v_fmac_f32_e32 v31, v35, v20
	v_add_f32_e32 v34, v30, v28
	v_add_f32_e32 v35, v24, v27
	v_add_f32_e32 v40, v31, v29
	v_add_f32_e32 v42, v41, v47
	v_add_f32_e32 v36, v25, v26
	v_add_f32_e32 v37, v35, v34
	v_add_f32_e32 v48, v43, v46
	v_add_f32_e32 v44, v42, v40
	v_sub_f32_e32 v24, v24, v27
	v_sub_f32_e32 v27, v41, v47
	;; [unrolled: 1-line block ×4, first 2 shown]
	v_add_f32_e32 v37, v36, v37
	v_add_f32_e32 v49, v48, v44
	v_sub_f32_e32 v29, v31, v29
	v_sub_f32_e32 v46, v26, v27
	v_add_f32_e32 v44, v32, v37
	v_add_f32_e32 v45, v33, v49
	v_sub_f32_e32 v32, v35, v34
	v_sub_f32_e32 v33, v36, v35
	v_add_f32_e32 v43, v26, v27
	v_sub_f32_e32 v27, v27, v29
	v_mul_f32_e32 v47, 0xbf08b237, v46
	v_sub_f32_e32 v34, v34, v36
	v_sub_f32_e32 v28, v30, v28
	v_mov_b32_e32 v30, v44
	v_add_f32_e32 v43, v43, v29
	v_mul_f32_e32 v46, 0x3d64c772, v33
	v_fma_f32 v55, v27, s5, -v47
	v_sub_f32_e32 v26, v29, v26
	v_mul_f32_e32 v29, 0x3f4a47b2, v34
	v_mul_f32_e32 v27, 0x3f5ff5aa, v27
	v_fmac_f32_e32 v30, 0xbf955555, v37
	v_fma_f32 v46, v32, s12, -v46
	v_fma_f32 v32, v32, s4, -v29
	;; [unrolled: 1-line block ×3, first 2 shown]
	v_sub_f32_e32 v35, v42, v40
	v_sub_f32_e32 v37, v48, v42
	;; [unrolled: 1-line block ×3, first 2 shown]
	v_add_f32_e32 v32, v32, v30
	v_fmac_f32_e32 v27, 0x3ee1c552, v43
	v_add_f32_e32 v41, v25, v24
	v_sub_f32_e32 v24, v24, v28
	v_mul_f32_e32 v42, 0xbf08b237, v42
	v_add_f32_e32 v56, v27, v32
	v_sub_f32_e32 v62, v32, v27
	v_sub_f32_e32 v27, v40, v48
	v_mov_b32_e32 v31, v45
	v_fma_f32 v54, v24, s5, -v42
	v_sub_f32_e32 v25, v28, v25
	v_mul_f32_e32 v27, 0x3f4a47b2, v27
	v_mul_f32_e32 v24, 0x3f5ff5aa, v24
	v_fmac_f32_e32 v31, 0xbf955555, v49
	v_add_f32_e32 v41, v41, v28
	v_fma_f32 v28, v35, s4, -v27
	v_fma_f32 v24, v25, s16, -v24
	v_mul_f32_e32 v49, 0x3d64c772, v37
	v_add_f32_e32 v28, v28, v31
	v_fmac_f32_e32 v24, 0x3ee1c552, v41
	v_fmac_f32_e32 v29, 0x3d64c772, v33
	;; [unrolled: 1-line block ×3, first 2 shown]
	v_fma_f32 v49, v35, s12, -v49
	v_add_f32_e32 v46, v46, v30
	v_fmac_f32_e32 v55, 0x3ee1c552, v43
	v_sub_f32_e32 v57, v28, v24
	v_add_f32_e32 v63, v24, v28
	v_add_f32_e32 v24, v29, v30
	v_fmac_f32_e32 v47, 0x3ee1c552, v43
	v_fmac_f32_e32 v27, 0x3d64c772, v37
	;; [unrolled: 1-line block ×3, first 2 shown]
	v_add_f32_e32 v49, v49, v31
	v_fmac_f32_e32 v54, 0x3ee1c552, v41
	v_sub_f32_e32 v58, v46, v55
	v_add_f32_e32 v60, v55, v46
	v_add_f32_e32 v46, v47, v24
	v_sub_f32_e32 v48, v24, v47
	v_add_f32_e32 v24, v27, v31
	v_fmac_f32_e32 v42, 0x3ee1c552, v41
	s_movk_i32 s4, 0x93
	v_add_f32_e32 v59, v54, v49
	v_sub_f32_e32 v61, v49, v54
	v_sub_f32_e32 v47, v24, v42
	v_add_f32_e32 v49, v42, v24
	v_mul_u32_u24_sdwa v24, v38, s4 dst_sel:DWORD dst_unused:UNUSED_PAD src0_sel:WORD_0 src1_sel:DWORD
	v_add_lshl_u32 v89, v24, v39, 3
	v_cmp_gt_u16_e64 s[4:5], s4, v84
	ds_write2_b64 v89, v[44:45], v[46:47] offset1:21
	ds_write2_b64 v89, v[56:57], v[58:59] offset0:42 offset1:63
	ds_write2_b64 v89, v[60:61], v[62:63] offset0:84 offset1:105
	ds_write_b64 v89, v[48:49] offset:1008
	s_waitcnt lgkmcnt(0)
	s_barrier
	s_and_saveexec_b64 s[16:17], s[4:5]
	s_cbranch_execz .LBB0_9
; %bb.8:
	v_add_u32_e32 v24, 0x800, v83
	ds_read2_b64 v[56:59], v24 offset0:38 offset1:185
	v_add_u32_e32 v24, 0x1000, v83
	ds_read2_b64 v[60:63], v24 offset0:76 offset1:223
	;; [unrolled: 2-line block ×3, first 2 shown]
	v_add_u32_e32 v24, 0x2400, v83
	ds_read2_b64 v[44:47], v83 offset1:147
	ds_read2_b64 v[52:55], v24 offset0:24 offset1:171
	ds_read_b64 v[79:80], v83 offset:11760
.LBB0_9:
	s_or_b64 exec, exec, s[16:17]
	v_add_u32_e32 v24, 0xffffff6d, v84
	v_cndmask_b32_e64 v24, v24, v84, s[4:5]
	v_mul_hi_i32_i24_e32 v25, 0x50, v24
	v_mul_i32_i24_e32 v24, 0x50, v24
	v_mov_b32_e32 v26, s15
	v_add_co_u32_e32 v81, vcc, s14, v24
	v_addc_co_u32_e32 v82, vcc, v26, v25, vcc
	global_load_dwordx4 v[36:39], v[81:82], off offset:1152
	global_load_dwordx4 v[32:35], v[81:82], off offset:1168
	;; [unrolled: 1-line block ×5, first 2 shown]
	s_mov_b32 s15, 0x3f575c64
	s_mov_b32 s12, 0x3ed4b147
	;; [unrolled: 1-line block ×5, first 2 shown]
	s_waitcnt vmcnt(4) lgkmcnt(2)
	v_mul_f32_e32 v90, v46, v37
	v_mul_f32_e32 v82, v57, v39
	;; [unrolled: 1-line block ×3, first 2 shown]
	v_fmac_f32_e32 v90, v47, v36
	s_waitcnt vmcnt(0) lgkmcnt(0)
	v_mul_f32_e32 v100, v79, v43
	v_mul_f32_e32 v98, v54, v41
	v_fmac_f32_e32 v100, v80, v42
	v_mul_f32_e32 v81, v47, v37
	v_mul_f32_e32 v92, v58, v33
	;; [unrolled: 1-line block ×7, first 2 shown]
	v_fma_f32 v56, v56, v38, -v82
	v_fmac_f32_e32 v91, v57, v38
	v_fmac_f32_e32 v98, v55, v40
	v_sub_f32_e32 v82, v90, v100
	v_mul_f32_e32 v93, v60, v35
	v_mul_f32_e32 v105, v51, v29
	v_fma_f32 v99, v46, v36, -v81
	v_fmac_f32_e32 v92, v59, v32
	v_fmac_f32_e32 v96, v51, v28
	v_fma_f32 v51, v52, v30, -v106
	v_fmac_f32_e32 v97, v53, v30
	v_fma_f32 v52, v54, v40, -v107
	v_fma_f32 v53, v79, v42, -v108
	v_sub_f32_e32 v149, v91, v98
	v_mul_f32_e32 v54, 0xbf0a6770, v82
	v_mul_f32_e32 v101, v59, v33
	;; [unrolled: 1-line block ×4, first 2 shown]
	v_fmac_f32_e32 v93, v61, v34
	v_add_f32_e32 v106, v99, v53
	v_sub_f32_e32 v81, v99, v53
	v_sub_f32_e32 v154, v92, v97
	v_mul_f32_e32 v55, 0xbf68dda4, v149
	v_mov_b32_e32 v46, v54
	v_mul_f32_e32 v103, v63, v25
	v_mul_f32_e32 v95, v48, v27
	v_fma_f32 v57, v58, v32, -v101
	v_fma_f32 v58, v60, v34, -v102
	;; [unrolled: 1-line block ×3, first 2 shown]
	v_add_f32_e32 v107, v90, v100
	v_add_f32_e32 v108, v56, v52
	v_sub_f32_e32 v150, v56, v52
	v_mul_f32_e32 v101, 0xbf0a6770, v81
	v_mul_f32_e32 v61, 0xbf7d64f0, v154
	v_mov_b32_e32 v48, v55
	v_fmac_f32_e32 v46, 0x3f575c64, v106
	v_sub_f32_e32 v157, v93, v96
	v_mul_f32_e32 v94, v62, v25
	v_fma_f32 v59, v62, v24, -v103
	v_fma_f32 v50, v50, v28, -v105
	v_add_f32_e32 v109, v91, v98
	v_add_f32_e32 v111, v57, v51
	v_sub_f32_e32 v151, v57, v51
	v_mul_f32_e32 v102, 0xbf68dda4, v150
	v_fma_f32 v47, v107, s15, -v101
	v_mov_b32_e32 v62, v61
	v_fmac_f32_e32 v48, 0x3ed4b147, v108
	v_add_f32_e32 v46, v44, v46
	v_mul_f32_e32 v104, 0xbf4178ce, v157
	v_fmac_f32_e32 v94, v63, v24
	v_fmac_f32_e32 v95, v49, v26
	v_add_f32_e32 v112, v92, v97
	v_add_f32_e32 v117, v58, v50
	v_mul_f32_e32 v103, 0xbf7d64f0, v151
	v_fma_f32 v49, v109, s12, -v102
	v_add_f32_e32 v47, v45, v47
	v_fmac_f32_e32 v62, 0xbe11bafb, v111
	v_add_f32_e32 v46, v48, v46
	v_sub_f32_e32 v156, v58, v50
	v_mov_b32_e32 v48, v104
	v_fma_f32 v63, v112, s14, -v103
	v_add_f32_e32 v47, v49, v47
	v_add_f32_e32 v46, v62, v46
	;; [unrolled: 1-line block ×3, first 2 shown]
	v_mul_f32_e32 v110, 0xbf4178ce, v156
	v_fmac_f32_e32 v48, 0xbf27a4f4, v117
	v_sub_f32_e32 v159, v94, v95
	v_add_f32_e32 v47, v63, v47
	v_add_f32_e32 v46, v48, v46
	v_fma_f32 v48, v124, s16, -v110
	v_mul_f32_e32 v113, 0xbe903f40, v159
	v_add_f32_e32 v47, v48, v47
	v_add_f32_e32 v128, v59, v60
	v_sub_f32_e32 v158, v59, v60
	v_mov_b32_e32 v48, v113
	v_add_f32_e32 v129, v94, v95
	v_mul_f32_e32 v114, 0xbe903f40, v158
	v_fmac_f32_e32 v48, 0xbf75a155, v128
	v_mul_f32_e32 v105, 0xbf68dda4, v82
	v_add_f32_e32 v62, v48, v46
	v_fma_f32 v46, v129, s17, -v114
	v_add_f32_e32 v63, v46, v47
	v_mov_b32_e32 v46, v105
	v_mul_f32_e32 v115, 0xbf4178ce, v149
	v_fmac_f32_e32 v46, 0x3ed4b147, v106
	v_mov_b32_e32 v47, v115
	v_add_f32_e32 v46, v44, v46
	v_fmac_f32_e32 v47, 0xbf27a4f4, v108
	v_mul_f32_e32 v119, 0xbf68dda4, v81
	v_add_f32_e32 v46, v47, v46
	v_fma_f32 v47, v107, s12, -v119
	v_mul_f32_e32 v120, 0xbf4178ce, v150
	v_add_f32_e32 v47, v45, v47
	v_fma_f32 v48, v109, s16, -v120
	v_mul_f32_e32 v116, 0x3e903f40, v154
	v_add_f32_e32 v47, v48, v47
	v_mov_b32_e32 v48, v116
	v_fmac_f32_e32 v48, 0xbf75a155, v111
	v_mul_f32_e32 v122, 0x3e903f40, v151
	v_add_f32_e32 v46, v48, v46
	v_fma_f32 v48, v112, s17, -v122
	v_mul_f32_e32 v118, 0x3f7d64f0, v157
	v_add_f32_e32 v47, v48, v47
	v_mov_b32_e32 v48, v118
	v_fmac_f32_e32 v48, 0xbe11bafb, v117
	;; [unrolled: 7-line block ×3, first 2 shown]
	v_mul_f32_e32 v125, 0x3f0a6770, v158
	v_mul_f32_e32 v126, 0xbf7d64f0, v82
	v_fma_f32 v49, v129, s15, -v125
	v_add_f32_e32 v46, v48, v46
	v_mov_b32_e32 v48, v126
	v_mul_f32_e32 v127, 0x3e903f40, v149
	v_add_f32_e32 v47, v49, v47
	v_fmac_f32_e32 v48, 0xbe11bafb, v106
	v_mov_b32_e32 v49, v127
	v_add_f32_e32 v48, v44, v48
	v_fmac_f32_e32 v49, 0xbf75a155, v108
	v_mul_f32_e32 v132, 0xbf7d64f0, v81
	v_add_f32_e32 v48, v49, v48
	v_fma_f32 v49, v107, s14, -v132
	v_mul_f32_e32 v133, 0x3e903f40, v150
	v_add_f32_e32 v49, v45, v49
	v_fma_f32 v79, v109, s17, -v133
	v_mul_f32_e32 v130, 0x3f68dda4, v154
	v_add_f32_e32 v49, v79, v49
	v_mov_b32_e32 v79, v130
	v_fmac_f32_e32 v79, 0x3ed4b147, v111
	v_mul_f32_e32 v135, 0x3f68dda4, v151
	v_add_f32_e32 v48, v79, v48
	v_fma_f32 v79, v112, s12, -v135
	v_mul_f32_e32 v131, 0xbf0a6770, v157
	v_add_f32_e32 v49, v79, v49
	v_mov_b32_e32 v79, v131
	v_fmac_f32_e32 v79, 0x3f575c64, v117
	;; [unrolled: 7-line block ×3, first 2 shown]
	v_mul_f32_e32 v137, 0xbf4178ce, v158
	v_add_f32_e32 v48, v79, v48
	v_fma_f32 v79, v129, s16, -v137
	v_mul_f32_e32 v138, 0xbf4178ce, v82
	v_add_f32_e32 v49, v79, v49
	v_mov_b32_e32 v79, v138
	v_mul_f32_e32 v139, 0x3f7d64f0, v149
	v_fmac_f32_e32 v79, 0xbf27a4f4, v106
	v_mov_b32_e32 v80, v139
	v_add_f32_e32 v79, v44, v79
	v_fmac_f32_e32 v80, 0xbe11bafb, v108
	v_mul_f32_e32 v142, 0xbf4178ce, v81
	v_add_f32_e32 v79, v80, v79
	v_fma_f32 v80, v107, s16, -v142
	v_mul_f32_e32 v143, 0x3f7d64f0, v150
	v_add_f32_e32 v80, v45, v80
	v_fma_f32 v140, v109, s14, -v143
	v_add_f32_e32 v80, v140, v80
	v_mul_f32_e32 v140, 0xbf0a6770, v154
	v_mov_b32_e32 v141, v140
	v_fmac_f32_e32 v141, 0x3f575c64, v111
	v_mul_f32_e32 v145, 0xbf0a6770, v151
	v_add_f32_e32 v79, v141, v79
	v_fma_f32 v141, v112, s15, -v145
	v_add_f32_e32 v80, v141, v80
	v_mul_f32_e32 v141, 0xbe903f40, v157
	v_mov_b32_e32 v144, v141
	v_fmac_f32_e32 v144, 0xbf75a155, v117
	;; [unrolled: 7-line block ×3, first 2 shown]
	v_add_f32_e32 v79, v147, v79
	v_mul_f32_e32 v147, 0x3f68dda4, v158
	v_fma_f32 v148, v129, s12, -v147
	v_add_f32_e32 v80, v148, v80
	v_mul_f32_e32 v148, 0xbe903f40, v82
	v_mov_b32_e32 v82, v148
	v_mul_f32_e32 v149, 0x3f0a6770, v149
	v_fmac_f32_e32 v82, 0xbf75a155, v106
	v_mov_b32_e32 v152, v149
	v_add_f32_e32 v82, v44, v82
	v_fmac_f32_e32 v152, 0x3f575c64, v108
	v_add_f32_e32 v82, v152, v82
	v_mul_f32_e32 v152, 0xbe903f40, v81
	v_fma_f32 v81, v107, s17, -v152
	v_mul_f32_e32 v153, 0x3f0a6770, v150
	v_add_f32_e32 v81, v45, v81
	v_fma_f32 v150, v109, s15, -v153
	v_add_f32_e32 v81, v150, v81
	v_mul_f32_e32 v150, 0xbf4178ce, v154
	v_mul_f32_e32 v155, 0xbf4178ce, v151
	v_mov_b32_e32 v154, v150
	v_fma_f32 v151, v112, s16, -v155
	v_fmac_f32_e32 v154, 0xbf27a4f4, v111
	v_add_f32_e32 v81, v151, v81
	v_mul_f32_e32 v151, 0x3f68dda4, v157
	v_add_f32_e32 v82, v154, v82
	v_mov_b32_e32 v154, v151
	v_fmac_f32_e32 v154, 0x3ed4b147, v117
	v_mul_f32_e32 v156, 0x3f68dda4, v156
	v_add_f32_e32 v82, v154, v82
	v_fma_f32 v154, v124, s12, -v156
	v_add_f32_e32 v160, v154, v81
	v_mul_f32_e32 v154, 0xbf7d64f0, v159
	v_mov_b32_e32 v81, v154
	v_mul_f32_e32 v157, 0xbf7d64f0, v158
	v_fmac_f32_e32 v81, 0xbe11bafb, v128
	v_add_f32_e32 v81, v81, v82
	v_fma_f32 v82, v129, s14, -v157
	v_add_f32_e32 v82, v82, v160
	s_and_saveexec_b64 s[14:15], s[4:5]
	s_cbranch_execz .LBB0_11
; %bb.10:
	v_mul_f32_e32 v158, 0x3f575c64, v106
	v_mul_f32_e32 v160, 0x3ed4b147, v106
	;; [unrolled: 1-line block ×15, first 2 shown]
	v_sub_f32_e32 v106, v106, v148
	v_mul_f32_e32 v167, 0x3ed4b147, v109
	v_mul_f32_e32 v169, 0xbf27a4f4, v109
	;; [unrolled: 1-line block ×10, first 2 shown]
	v_add_f32_e32 v107, v152, v107
	v_add_f32_e32 v106, v44, v106
	v_sub_f32_e32 v108, v108, v149
	v_mul_f32_e32 v175, 0xbe11bafb, v112
	v_mul_f32_e32 v177, 0xbf75a155, v112
	;; [unrolled: 1-line block ×10, first 2 shown]
	v_add_f32_e32 v107, v45, v107
	v_add_f32_e32 v109, v153, v109
	;; [unrolled: 1-line block ×3, first 2 shown]
	v_sub_f32_e32 v108, v111, v150
	v_mul_f32_e32 v183, 0xbf27a4f4, v124
	v_mul_f32_e32 v185, 0xbe11bafb, v124
	v_mul_f32_e32 v187, 0x3f575c64, v124
	v_mul_f32_e32 v189, 0xbf75a155, v124
	v_mul_f32_e32 v124, 0x3ed4b147, v124
	v_mul_f32_e32 v190, 0xbf75a155, v128
	v_mul_f32_e32 v192, 0x3f575c64, v128
	v_mul_f32_e32 v194, 0xbf27a4f4, v128
	v_mul_f32_e32 v196, 0x3ed4b147, v128
	v_mul_f32_e32 v128, 0xbe11bafb, v128
	v_add_f32_e32 v107, v109, v107
	v_add_f32_e32 v109, v155, v112
	;; [unrolled: 1-line block ×3, first 2 shown]
	v_sub_f32_e32 v108, v117, v151
	v_mul_f32_e32 v191, 0xbf75a155, v129
	v_mul_f32_e32 v193, 0x3f575c64, v129
	;; [unrolled: 1-line block ×5, first 2 shown]
	v_add_f32_e32 v107, v109, v107
	v_add_f32_e32 v109, v156, v124
	;; [unrolled: 1-line block ×3, first 2 shown]
	v_sub_f32_e32 v108, v128, v154
	v_add_f32_e32 v107, v109, v107
	v_add_f32_e32 v109, v157, v129
	;; [unrolled: 1-line block ×14, first 2 shown]
	v_sub_f32_e32 v108, v164, v138
	v_add_f32_e32 v108, v44, v108
	v_sub_f32_e32 v111, v172, v139
	v_add_f32_e32 v108, v111, v108
	;; [unrolled: 2-line block ×5, first 2 shown]
	v_add_f32_e32 v111, v132, v163
	v_add_f32_e32 v111, v45, v111
	;; [unrolled: 1-line block ×10, first 2 shown]
	v_sub_f32_e32 v111, v162, v126
	v_add_f32_e32 v111, v44, v111
	v_sub_f32_e32 v117, v170, v127
	v_add_f32_e32 v111, v117, v111
	;; [unrolled: 2-line block ×5, first 2 shown]
	v_add_f32_e32 v117, v119, v161
	v_sub_f32_e32 v105, v160, v105
	v_add_f32_e32 v101, v101, v159
	v_sub_f32_e32 v54, v158, v54
	v_add_f32_e32 v117, v45, v117
	v_add_f32_e32 v105, v44, v105
	;; [unrolled: 1-line block ×15, first 2 shown]
	v_sub_f32_e32 v55, v166, v55
	v_add_f32_e32 v45, v45, v95
	v_add_f32_e32 v44, v44, v60
	v_add_f32_e32 v119, v120, v169
	v_sub_f32_e32 v115, v168, v115
	v_add_f32_e32 v101, v102, v101
	v_add_f32_e32 v102, v103, v175
	v_add_f32_e32 v54, v55, v54
	;; [unrolled: 4-line block ×3, first 2 shown]
	v_add_f32_e32 v119, v122, v177
	v_add_f32_e32 v105, v115, v105
	v_sub_f32_e32 v115, v176, v116
	v_add_f32_e32 v101, v102, v101
	v_add_f32_e32 v102, v110, v183
	;; [unrolled: 1-line block ×3, first 2 shown]
	v_sub_f32_e32 v55, v182, v104
	v_add_f32_e32 v45, v45, v97
	v_add_f32_e32 v44, v44, v51
	;; [unrolled: 1-line block ×5, first 2 shown]
	v_sub_f32_e32 v115, v184, v118
	v_add_f32_e32 v101, v102, v101
	v_add_f32_e32 v102, v114, v191
	;; [unrolled: 1-line block ×3, first 2 shown]
	v_sub_f32_e32 v55, v190, v113
	v_add_f32_e32 v45, v45, v98
	v_add_f32_e32 v44, v44, v52
	;; [unrolled: 1-line block ×5, first 2 shown]
	v_sub_f32_e32 v115, v192, v121
	v_add_f32_e32 v102, v102, v101
	v_add_f32_e32 v101, v55, v54
	;; [unrolled: 1-line block ×6, first 2 shown]
	ds_write2_b64 v83, v[44:45], v[101:102] offset1:147
	v_add_u32_e32 v44, 0x800, v83
	ds_write2_b64 v44, v[116:117], v[111:112] offset0:38 offset1:185
	v_add_u32_e32 v44, 0x1000, v83
	ds_write2_b64 v44, v[108:109], v[106:107] offset0:76 offset1:223
	;; [unrolled: 2-line block ×4, first 2 shown]
	ds_write_b64 v83, v[62:63] offset:11760
.LBB0_11:
	s_or_b64 exec, exec, s[14:15]
	v_mov_b32_e32 v44, s13
	v_addc_co_u32_e64 v52, vcc, 0, v44, s[2:3]
	v_add_co_u32_e32 v44, vcc, 0x3288, v64
	v_addc_co_u32_e32 v45, vcc, 0, v52, vcc
	v_add_co_u32_e32 v50, vcc, 0x3000, v64
	v_addc_co_u32_e32 v51, vcc, 0, v52, vcc
	s_waitcnt lgkmcnt(0)
	s_barrier
	global_load_dwordx2 v[55:56], v[50:51], off offset:648
	v_add_co_u32_e32 v50, vcc, 0x4000, v64
	v_addc_co_u32_e32 v51, vcc, 0, v52, vcc
	global_load_dwordx2 v[59:60], v[50:51], off offset:864
	global_load_dwordx2 v[98:99], v[50:51], off offset:2712
	;; [unrolled: 1-line block ×3, first 2 shown]
	v_add_co_u32_e32 v50, vcc, 0x5000, v64
	v_addc_co_u32_e32 v51, vcc, 0, v52, vcc
	global_load_dwordx2 v[102:103], v[50:51], off offset:1080
	global_load_dwordx2 v[104:105], v[50:51], off offset:2928
	ds_read2_b64 v[50:53], v83 offset1:231
	v_add_u32_e32 v54, 0x1080, v83
	v_add_u32_e32 v58, 0x2100, v83
	s_waitcnt vmcnt(5) lgkmcnt(0)
	v_mul_f32_e32 v61, v51, v56
	v_mul_f32_e32 v57, v50, v56
	v_fma_f32 v56, v50, v55, -v61
	v_fmac_f32_e32 v57, v51, v55
	ds_write_b64 v83, v[56:57]
	ds_read2_b64 v[90:93], v54 offset0:11 offset1:242
	ds_read2_b64 v[94:97], v58 offset0:22 offset1:253
	s_waitcnt vmcnt(2)
	v_mul_f32_e32 v50, v53, v101
	v_mul_f32_e32 v51, v52, v101
	v_fma_f32 v50, v52, v100, -v50
	v_fmac_f32_e32 v51, v53, v100
	ds_write_b64 v83, v[50:51] offset:1848
	s_waitcnt lgkmcnt(2)
	v_mul_f32_e32 v50, v91, v60
	v_mul_f32_e32 v51, v90, v60
	;; [unrolled: 1-line block ×4, first 2 shown]
	s_waitcnt vmcnt(1) lgkmcnt(1)
	v_mul_f32_e32 v52, v95, v103
	v_mul_f32_e32 v53, v94, v103
	s_waitcnt vmcnt(0)
	v_mul_f32_e32 v57, v97, v105
	v_mul_f32_e32 v60, v96, v105
	v_fma_f32 v50, v90, v59, -v50
	v_fmac_f32_e32 v51, v91, v59
	v_fma_f32 v55, v92, v98, -v55
	v_fmac_f32_e32 v56, v93, v98
	v_fma_f32 v52, v94, v102, -v52
	v_fmac_f32_e32 v53, v95, v102
	v_fma_f32 v59, v96, v104, -v57
	v_fmac_f32_e32 v60, v97, v104
	ds_write2_b64 v54, v[50:51], v[55:56] offset0:11 offset1:242
	ds_write2_b64 v58, v[52:53], v[59:60] offset0:22 offset1:253
	s_and_saveexec_b64 s[2:3], s[0:1]
	s_cbranch_execz .LBB0_13
; %bb.12:
	v_add_co_u32_e32 v52, vcc, 0x1000, v44
	v_addc_co_u32_e32 v53, vcc, 0, v45, vcc
	global_load_dwordx2 v[50:51], v[44:45], off offset:3696
	v_add_co_u32_e32 v44, vcc, 0x3000, v44
	global_load_dwordx2 v[52:53], v[52:53], off offset:3912
	v_addc_co_u32_e32 v45, vcc, 0, v45, vcc
	global_load_dwordx2 v[44:45], v[44:45], off offset:32
	ds_read_b64 v[55:56], v83 offset:3696
	ds_read_b64 v[59:60], v83 offset:8008
	;; [unrolled: 1-line block ×3, first 2 shown]
	s_waitcnt vmcnt(2) lgkmcnt(2)
	v_mul_f32_e32 v57, v56, v51
	v_mul_f32_e32 v93, v55, v51
	v_fma_f32 v92, v55, v50, -v57
	v_fmac_f32_e32 v93, v56, v50
	s_waitcnt vmcnt(1) lgkmcnt(1)
	v_mul_f32_e32 v50, v60, v53
	v_mul_f32_e32 v51, v59, v53
	v_fma_f32 v50, v59, v52, -v50
	v_fmac_f32_e32 v51, v60, v52
	s_waitcnt vmcnt(0) lgkmcnt(0)
	v_mul_f32_e32 v53, v91, v45
	v_mul_f32_e32 v52, v90, v45
	ds_write_b64 v83, v[50:51] offset:8008
	v_fma_f32 v51, v90, v44, -v53
	v_fmac_f32_e32 v52, v91, v44
	ds_write_b64 v83, v[92:93] offset:3696
	ds_write_b64 v83, v[51:52] offset:12320
.LBB0_13:
	s_or_b64 exec, exec, s[2:3]
	s_waitcnt lgkmcnt(0)
	s_barrier
	ds_read2_b64 v[50:53], v83 offset1:231
	ds_read2_b64 v[54:57], v54 offset0:11 offset1:242
	ds_read2_b64 v[58:61], v58 offset0:22 offset1:253
	s_and_saveexec_b64 s[2:3], s[0:1]
	s_cbranch_execz .LBB0_15
; %bb.14:
	ds_read_b64 v[81:82], v83 offset:3696
	ds_read_b64 v[79:80], v83 offset:8008
	;; [unrolled: 1-line block ×3, first 2 shown]
.LBB0_15:
	s_or_b64 exec, exec, s[2:3]
	s_waitcnt lgkmcnt(1)
	v_add_f32_e32 v44, v50, v54
	s_waitcnt lgkmcnt(0)
	v_add_f32_e32 v90, v44, v58
	v_add_f32_e32 v44, v54, v58
	v_fma_f32 v92, -0.5, v44, v50
	v_sub_f32_e32 v44, v55, v59
	v_mov_b32_e32 v94, v92
	v_fmac_f32_e32 v94, 0xbf5db3d7, v44
	v_fmac_f32_e32 v92, 0x3f5db3d7, v44
	v_add_f32_e32 v44, v51, v55
	v_add_f32_e32 v91, v44, v59
	v_add_f32_e32 v44, v55, v59
	v_fma_f32 v93, -0.5, v44, v51
	v_sub_f32_e32 v44, v54, v58
	v_mov_b32_e32 v95, v93
	v_fmac_f32_e32 v95, 0x3f5db3d7, v44
	v_fmac_f32_e32 v93, 0xbf5db3d7, v44
	v_add_f32_e32 v44, v52, v56
	;; [unrolled: 8-line block ×3, first 2 shown]
	v_add_f32_e32 v55, v44, v61
	v_add_f32_e32 v44, v57, v61
	v_fmac_f32_e32 v53, -0.5, v44
	v_sub_f32_e32 v44, v56, v60
	v_mov_b32_e32 v59, v53
	v_fmac_f32_e32 v59, 0x3f5db3d7, v44
	v_fmac_f32_e32 v53, 0xbf5db3d7, v44
	v_add_f32_e32 v44, v79, v48
	v_fma_f32 v44, -0.5, v44, v81
	v_sub_f32_e32 v45, v80, v49
	v_mov_b32_e32 v50, v44
	v_fmac_f32_e32 v50, 0xbf5db3d7, v45
	v_fmac_f32_e32 v44, 0x3f5db3d7, v45
	v_add_f32_e32 v45, v80, v49
	v_fma_f32 v45, -0.5, v45, v82
	v_sub_f32_e32 v56, v79, v48
	v_mov_b32_e32 v51, v45
	v_fmac_f32_e32 v51, 0x3f5db3d7, v56
	v_fmac_f32_e32 v45, 0xbf5db3d7, v56
	s_barrier
	ds_write2_b64 v85, v[90:91], v[94:95] offset1:1
	ds_write_b64 v85, v[92:93] offset:16
	ds_write2_b64 v87, v[54:55], v[58:59] offset1:1
	ds_write_b64 v87, v[52:53] offset:16
	s_and_saveexec_b64 s[2:3], s[0:1]
	s_cbranch_execz .LBB0_17
; %bb.16:
	v_add_f32_e32 v52, v82, v80
	v_add_f32_e32 v49, v52, v49
	;; [unrolled: 1-line block ×4, first 2 shown]
	v_lshlrev_b32_e32 v52, 3, v86
	ds_write2_b64 v52, v[48:49], v[50:51] offset1:1
	ds_write_b64 v52, v[44:45] offset:16
.LBB0_17:
	s_or_b64 exec, exec, s[2:3]
	s_waitcnt lgkmcnt(0)
	s_barrier
	ds_read2_b64 v[52:55], v83 offset1:231
	v_add_u32_e32 v60, 0xe00, v83
	ds_read2_b64 v[56:59], v60 offset0:14 offset1:245
	v_add_u32_e32 v61, 0x1c80, v83
	ds_read2_b64 v[79:82], v61 offset0:12 offset1:243
	ds_read_b64 v[48:49], v83 offset:11088
	s_waitcnt lgkmcnt(3)
	v_mul_f32_e32 v85, v9, v55
	v_mul_f32_e32 v9, v9, v54
	v_fmac_f32_e32 v85, v8, v54
	v_fma_f32 v8, v8, v55, -v9
	s_waitcnt lgkmcnt(2)
	v_mul_f32_e32 v9, v11, v57
	v_mul_f32_e32 v11, v11, v56
	v_fmac_f32_e32 v9, v10, v56
	v_fma_f32 v10, v10, v57, -v11
	v_mul_f32_e32 v11, v5, v59
	v_mul_f32_e32 v5, v5, v58
	v_fmac_f32_e32 v11, v4, v58
	v_fma_f32 v4, v4, v59, -v5
	s_waitcnt lgkmcnt(1)
	v_mul_f32_e32 v5, v7, v80
	v_mul_f32_e32 v7, v7, v79
	v_fmac_f32_e32 v5, v6, v79
	v_fma_f32 v6, v6, v80, -v7
	;; [unrolled: 9-line block ×3, first 2 shown]
	v_add_f32_e32 v3, v85, v1
	v_add_f32_e32 v48, v8, v2
	v_sub_f32_e32 v2, v8, v2
	v_add_f32_e32 v8, v9, v7
	v_add_f32_e32 v49, v10, v0
	v_sub_f32_e32 v7, v9, v7
	v_sub_f32_e32 v0, v10, v0
	v_add_f32_e32 v9, v11, v5
	v_add_f32_e32 v10, v4, v6
	v_sub_f32_e32 v4, v6, v4
	v_add_f32_e32 v6, v8, v3
	v_sub_f32_e32 v5, v5, v11
	v_add_f32_e32 v11, v49, v48
	v_add_f32_e32 v6, v9, v6
	v_sub_f32_e32 v1, v85, v1
	v_sub_f32_e32 v54, v8, v3
	;; [unrolled: 1-line block ×4, first 2 shown]
	v_add_f32_e32 v56, v5, v7
	v_add_f32_e32 v57, v4, v0
	v_sub_f32_e32 v59, v4, v0
	v_sub_f32_e32 v79, v0, v2
	v_add_f32_e32 v9, v10, v11
	v_add_f32_e32 v0, v52, v6
	v_sub_f32_e32 v55, v49, v48
	v_sub_f32_e32 v48, v48, v10
	;; [unrolled: 1-line block ×6, first 2 shown]
	v_add_f32_e32 v10, v56, v1
	v_add_f32_e32 v1, v53, v9
	v_mul_f32_e32 v56, 0x3f08b237, v59
	v_mov_b32_e32 v59, v0
	v_sub_f32_e32 v4, v2, v4
	v_add_f32_e32 v2, v57, v2
	v_mul_f32_e32 v3, 0x3f4a47b2, v3
	v_mul_f32_e32 v11, 0x3f4a47b2, v48
	;; [unrolled: 1-line block ×5, first 2 shown]
	s_mov_b32 s2, 0xbf5ff5aa
	v_mul_f32_e32 v57, 0xbf5ff5aa, v7
	v_mul_f32_e32 v58, 0xbf5ff5aa, v79
	v_fmac_f32_e32 v59, 0xbf955555, v6
	v_mov_b32_e32 v6, v1
	s_mov_b32 s3, 0x3f3bfb3b
	s_mov_b32 s12, 0xbf3bfb3b
	;; [unrolled: 1-line block ×3, first 2 shown]
	v_fmac_f32_e32 v6, 0xbf955555, v9
	v_fma_f32 v9, v54, s3, -v48
	v_fma_f32 v48, v55, s3, -v52
	;; [unrolled: 1-line block ×3, first 2 shown]
	v_fmac_f32_e32 v3, 0x3d64c772, v8
	v_fma_f32 v8, v55, s12, -v11
	v_fmac_f32_e32 v11, 0x3d64c772, v49
	v_fma_f32 v49, v7, s2, -v53
	;; [unrolled: 2-line block ×4, first 2 shown]
	v_fma_f32 v57, v4, s13, -v58
	v_add_f32_e32 v58, v3, v59
	v_add_f32_e32 v79, v11, v6
	;; [unrolled: 1-line block ×6, first 2 shown]
	v_fmac_f32_e32 v53, 0xbee1c552, v10
	v_fmac_f32_e32 v56, 0xbee1c552, v2
	;; [unrolled: 1-line block ×6, first 2 shown]
	v_add_f32_e32 v2, v56, v58
	v_sub_f32_e32 v3, v79, v53
	v_add_f32_e32 v4, v57, v48
	v_sub_f32_e32 v5, v52, v55
	v_sub_f32_e32 v6, v9, v54
	v_add_f32_e32 v7, v49, v11
	v_add_f32_e32 v8, v54, v9
	v_sub_f32_e32 v9, v11, v49
	v_sub_f32_e32 v10, v48, v57
	v_add_f32_e32 v11, v55, v52
	v_sub_f32_e32 v48, v58, v56
	v_add_f32_e32 v49, v53, v79
	s_barrier
	ds_write2_b64 v88, v[0:1], v[2:3] offset1:3
	ds_write2_b64 v88, v[4:5], v[6:7] offset0:6 offset1:9
	ds_write2_b64 v88, v[8:9], v[10:11] offset0:12 offset1:15
	ds_write_b64 v88, v[48:49] offset:144
	s_waitcnt lgkmcnt(0)
	s_barrier
	ds_read2_b64 v[0:3], v83 offset1:231
	ds_read2_b64 v[4:7], v60 offset0:14 offset1:245
	ds_read2_b64 v[8:11], v61 offset0:12 offset1:243
	ds_read_b64 v[48:49], v83 offset:11088
	s_waitcnt lgkmcnt(0)
	v_mul_f32_e32 v52, v21, v3
	v_fmac_f32_e32 v52, v20, v2
	v_mul_f32_e32 v2, v21, v2
	v_fma_f32 v2, v20, v3, -v2
	v_mul_f32_e32 v3, v23, v5
	v_fmac_f32_e32 v3, v22, v4
	v_mul_f32_e32 v4, v23, v4
	v_fma_f32 v4, v22, v5, -v4
	;; [unrolled: 4-line block ×5, first 2 shown]
	v_mul_f32_e32 v11, v15, v49
	v_mul_f32_e32 v12, v15, v48
	v_fmac_f32_e32 v11, v14, v48
	v_fma_f32 v12, v14, v49, -v12
	v_add_f32_e32 v13, v52, v11
	v_add_f32_e32 v14, v2, v12
	v_sub_f32_e32 v2, v2, v12
	v_add_f32_e32 v12, v3, v9
	v_add_f32_e32 v15, v4, v10
	v_sub_f32_e32 v3, v3, v9
	v_add_f32_e32 v9, v5, v7
	v_sub_f32_e32 v5, v7, v5
	;; [unrolled: 2-line block ×4, first 2 shown]
	v_add_f32_e32 v8, v15, v14
	v_add_f32_e32 v7, v9, v7
	v_sub_f32_e32 v11, v52, v11
	v_add_f32_e32 v8, v10, v8
	v_add_f32_e32 v0, v0, v7
	v_sub_f32_e32 v16, v12, v13
	v_sub_f32_e32 v17, v15, v14
	;; [unrolled: 1-line block ×6, first 2 shown]
	v_add_f32_e32 v18, v5, v3
	v_add_f32_e32 v19, v6, v4
	v_sub_f32_e32 v20, v5, v3
	v_sub_f32_e32 v21, v6, v4
	;; [unrolled: 1-line block ×4, first 2 shown]
	v_add_f32_e32 v1, v1, v8
	v_mov_b32_e32 v22, v0
	v_sub_f32_e32 v5, v11, v5
	v_sub_f32_e32 v6, v2, v6
	v_add_f32_e32 v9, v18, v11
	v_add_f32_e32 v2, v19, v2
	v_mul_f32_e32 v10, 0x3f4a47b2, v13
	v_mul_f32_e32 v11, 0x3f4a47b2, v14
	;; [unrolled: 1-line block ×8, first 2 shown]
	v_fmac_f32_e32 v22, 0xbf955555, v7
	v_mov_b32_e32 v7, v1
	v_fmac_f32_e32 v7, 0xbf955555, v8
	v_fma_f32 v8, v16, s3, -v13
	v_fma_f32 v13, v17, s3, -v14
	;; [unrolled: 1-line block ×3, first 2 shown]
	v_fmac_f32_e32 v10, 0x3d64c772, v12
	v_fma_f32 v12, v17, s12, -v11
	v_fmac_f32_e32 v11, 0x3d64c772, v15
	v_fma_f32 v15, v3, s2, -v18
	;; [unrolled: 2-line block ×4, first 2 shown]
	v_fma_f32 v6, v6, s13, -v21
	v_add_f32_e32 v17, v10, v22
	v_add_f32_e32 v20, v11, v7
	;; [unrolled: 1-line block ×6, first 2 shown]
	v_fmac_f32_e32 v18, 0xbee1c552, v9
	v_fmac_f32_e32 v19, 0xbee1c552, v2
	;; [unrolled: 1-line block ×6, first 2 shown]
	v_add_f32_e32 v2, v19, v17
	v_sub_f32_e32 v3, v20, v18
	v_add_f32_e32 v8, v6, v14
	v_sub_f32_e32 v9, v7, v16
	v_sub_f32_e32 v10, v5, v4
	v_add_f32_e32 v11, v15, v13
	v_add_f32_e32 v4, v4, v5
	v_sub_f32_e32 v5, v13, v15
	v_sub_f32_e32 v6, v14, v6
	v_add_f32_e32 v7, v16, v7
	v_sub_f32_e32 v48, v17, v19
	v_add_f32_e32 v49, v18, v20
	s_barrier
	ds_write2_b64 v89, v[0:1], v[2:3] offset1:21
	ds_write2_b64 v89, v[8:9], v[10:11] offset0:42 offset1:63
	ds_write2_b64 v89, v[4:5], v[6:7] offset0:84 offset1:105
	ds_write_b64 v89, v[48:49] offset:1008
	s_waitcnt lgkmcnt(0)
	s_barrier
	s_and_saveexec_b64 s[2:3], s[4:5]
	s_cbranch_execz .LBB0_19
; %bb.18:
	v_add_u32_e32 v4, 0x800, v83
	v_add_u32_e32 v12, 0x1a00, v83
	ds_read2_b64 v[8:11], v4 offset0:38 offset1:185
	v_add_u32_e32 v4, 0x1000, v83
	ds_read2_b64 v[48:51], v12 offset0:50 offset1:197
	v_add_u32_e32 v12, 0x2400, v83
	ds_read2_b64 v[0:3], v83 offset1:147
	ds_read2_b64 v[4:7], v4 offset0:76 offset1:223
	ds_read2_b64 v[44:47], v12 offset0:24 offset1:171
	ds_read_b64 v[62:63], v83 offset:11760
.LBB0_19:
	s_or_b64 exec, exec, s[2:3]
	s_and_saveexec_b64 s[2:3], s[4:5]
	s_cbranch_execz .LBB0_21
; %bb.20:
	s_waitcnt lgkmcnt(3)
	v_mul_f32_e32 v13, v37, v2
	s_waitcnt lgkmcnt(0)
	v_mul_f32_e32 v12, v43, v62
	v_fma_f32 v13, v36, v3, -v13
	v_mul_f32_e32 v16, v37, v3
	v_mul_f32_e32 v3, v41, v46
	v_fma_f32 v12, v42, v63, -v12
	v_fma_f32 v18, v40, v47, -v3
	v_mul_f32_e32 v3, v39, v8
	v_add_f32_e32 v14, v12, v13
	v_mul_f32_e32 v17, v43, v63
	v_fma_f32 v19, v38, v9, -v3
	v_mul_f32_e32 v15, 0xbf75a155, v14
	v_fmac_f32_e32 v16, v36, v2
	v_fmac_f32_e32 v17, v42, v62
	v_add_f32_e32 v20, v18, v19
	v_mul_f32_e32 v23, v39, v9
	v_mul_f32_e32 v36, v41, v47
	v_sub_f32_e32 v22, v16, v17
	v_mov_b32_e32 v2, v15
	v_mul_f32_e32 v21, 0x3f575c64, v20
	v_fmac_f32_e32 v23, v38, v8
	v_fmac_f32_e32 v36, v40, v46
	;; [unrolled: 1-line block ×3, first 2 shown]
	v_sub_f32_e32 v37, v23, v36
	v_mov_b32_e32 v3, v21
	v_add_f32_e32 v2, v1, v2
	v_fmac_f32_e32 v3, 0xbf0a6770, v37
	v_add_f32_e32 v2, v3, v2
	v_mul_f32_e32 v3, v31, v44
	v_fma_f32 v38, v30, v45, -v3
	v_mul_f32_e32 v3, v33, v10
	v_fma_f32 v39, v32, v11, -v3
	v_add_f32_e32 v40, v38, v39
	v_mul_f32_e32 v33, v33, v11
	v_mul_f32_e32 v31, v31, v45
	;; [unrolled: 1-line block ×3, first 2 shown]
	v_fmac_f32_e32 v33, v32, v10
	v_fmac_f32_e32 v31, v30, v44
	v_sub_f32_e32 v30, v33, v31
	v_mov_b32_e32 v3, v41
	v_fmac_f32_e32 v3, 0x3f4178ce, v30
	v_add_f32_e32 v2, v3, v2
	v_mul_f32_e32 v3, v29, v50
	v_fma_f32 v32, v28, v51, -v3
	v_mul_f32_e32 v3, v35, v4
	v_fma_f32 v42, v34, v5, -v3
	v_add_f32_e32 v10, v32, v42
	v_mul_f32_e32 v35, v35, v5
	v_mul_f32_e32 v29, v29, v51
	;; [unrolled: 1-line block ×3, first 2 shown]
	v_fmac_f32_e32 v35, v34, v4
	v_fmac_f32_e32 v29, v28, v50
	v_sub_f32_e32 v28, v35, v29
	v_mov_b32_e32 v3, v43
	v_fmac_f32_e32 v3, 0xbf68dda4, v28
	v_add_f32_e32 v2, v3, v2
	v_mul_f32_e32 v3, v27, v48
	v_fma_f32 v34, v26, v49, -v3
	v_mul_f32_e32 v3, v25, v6
	v_fma_f32 v44, v24, v7, -v3
	v_mul_f32_e32 v25, v25, v7
	v_add_f32_e32 v11, v34, v44
	v_fmac_f32_e32 v25, v24, v6
	v_mul_f32_e32 v24, v27, v49
	v_mul_f32_e32 v45, 0xbe11bafb, v11
	v_fmac_f32_e32 v24, v26, v48
	v_sub_f32_e32 v26, v25, v24
	v_mov_b32_e32 v3, v45
	v_sub_f32_e32 v46, v13, v12
	v_fmac_f32_e32 v3, 0x3f7d64f0, v26
	v_mul_f32_e32 v47, 0xbe903f40, v46
	v_sub_f32_e32 v49, v19, v18
	v_add_f32_e32 v3, v3, v2
	v_add_f32_e32 v27, v17, v16
	v_mov_b32_e32 v2, v47
	v_mul_f32_e32 v50, 0x3f0a6770, v49
	v_fmac_f32_e32 v2, 0xbf75a155, v27
	v_add_f32_e32 v48, v36, v23
	v_mov_b32_e32 v4, v50
	v_sub_f32_e32 v52, v39, v38
	v_add_f32_e32 v2, v0, v2
	v_fmac_f32_e32 v4, 0x3f575c64, v48
	v_mul_f32_e32 v53, 0xbf4178ce, v52
	v_add_f32_e32 v2, v4, v2
	v_add_f32_e32 v51, v31, v33
	v_mov_b32_e32 v4, v53
	v_sub_f32_e32 v55, v42, v32
	v_fmac_f32_e32 v4, 0xbf27a4f4, v51
	v_mul_f32_e32 v56, 0x3f68dda4, v55
	v_add_f32_e32 v2, v4, v2
	v_add_f32_e32 v54, v29, v35
	v_mov_b32_e32 v4, v56
	v_sub_f32_e32 v58, v44, v34
	v_fmac_f32_e32 v4, 0x3ed4b147, v54
	v_mul_f32_e32 v59, 0xbf7d64f0, v58
	v_add_f32_e32 v2, v4, v2
	v_add_f32_e32 v57, v24, v25
	v_mov_b32_e32 v4, v59
	v_fmac_f32_e32 v4, 0xbe11bafb, v57
	v_mul_f32_e32 v60, 0xbf27a4f4, v14
	v_add_f32_e32 v2, v4, v2
	v_mov_b32_e32 v4, v60
	v_mul_f32_e32 v61, 0xbe11bafb, v20
	v_fmac_f32_e32 v4, 0x3f4178ce, v22
	v_mov_b32_e32 v5, v61
	v_add_f32_e32 v4, v1, v4
	v_fmac_f32_e32 v5, 0xbf7d64f0, v37
	v_mul_f32_e32 v62, 0x3f575c64, v40
	v_add_f32_e32 v4, v5, v4
	v_mov_b32_e32 v5, v62
	v_fmac_f32_e32 v5, 0x3f0a6770, v30
	v_mul_f32_e32 v63, 0xbf75a155, v10
	v_add_f32_e32 v4, v5, v4
	v_mov_b32_e32 v5, v63
	v_fmac_f32_e32 v5, 0x3e903f40, v28
	v_mul_f32_e32 v79, 0x3ed4b147, v11
	v_add_f32_e32 v4, v5, v4
	v_mov_b32_e32 v5, v79
	v_fmac_f32_e32 v5, 0xbf68dda4, v26
	v_mul_f32_e32 v80, 0xbf4178ce, v46
	v_add_f32_e32 v5, v5, v4
	v_mov_b32_e32 v4, v80
	v_mul_f32_e32 v81, 0x3f7d64f0, v49
	v_fmac_f32_e32 v4, 0xbf27a4f4, v27
	v_mov_b32_e32 v6, v81
	v_add_f32_e32 v4, v0, v4
	v_fmac_f32_e32 v6, 0xbe11bafb, v48
	v_mul_f32_e32 v82, 0xbf0a6770, v52
	v_add_f32_e32 v4, v6, v4
	v_mov_b32_e32 v6, v82
	v_fmac_f32_e32 v6, 0x3f575c64, v51
	v_mul_f32_e32 v85, 0xbe903f40, v55
	v_add_f32_e32 v4, v6, v4
	v_mov_b32_e32 v6, v85
	v_fmac_f32_e32 v6, 0xbf75a155, v54
	v_mul_f32_e32 v86, 0x3f68dda4, v58
	v_add_f32_e32 v4, v6, v4
	v_mov_b32_e32 v6, v86
	v_fmac_f32_e32 v6, 0x3ed4b147, v57
	v_mul_f32_e32 v87, 0xbe11bafb, v14
	v_add_f32_e32 v4, v6, v4
	v_mov_b32_e32 v6, v87
	v_mul_f32_e32 v88, 0xbf75a155, v20
	v_fmac_f32_e32 v6, 0x3f7d64f0, v22
	v_mov_b32_e32 v7, v88
	v_add_f32_e32 v6, v1, v6
	v_fmac_f32_e32 v7, 0xbe903f40, v37
	v_mul_f32_e32 v89, 0x3ed4b147, v40
	v_add_f32_e32 v6, v7, v6
	v_mov_b32_e32 v7, v89
	v_fmac_f32_e32 v7, 0xbf68dda4, v30
	v_mul_f32_e32 v90, 0x3f575c64, v10
	v_add_f32_e32 v6, v7, v6
	v_mov_b32_e32 v7, v90
	v_fmac_f32_e32 v7, 0x3f0a6770, v28
	v_mul_f32_e32 v91, 0xbf27a4f4, v11
	v_add_f32_e32 v6, v7, v6
	v_mov_b32_e32 v7, v91
	v_fmac_f32_e32 v7, 0x3f4178ce, v26
	v_mul_f32_e32 v92, 0xbf7d64f0, v46
	v_add_f32_e32 v7, v7, v6
	v_mov_b32_e32 v6, v92
	v_mul_f32_e32 v93, 0x3e903f40, v49
	v_fmac_f32_e32 v6, 0xbe11bafb, v27
	v_mov_b32_e32 v8, v93
	v_add_f32_e32 v6, v0, v6
	v_fmac_f32_e32 v8, 0xbf75a155, v48
	v_mul_f32_e32 v94, 0x3f68dda4, v52
	v_add_f32_e32 v6, v8, v6
	v_mov_b32_e32 v8, v94
	v_fmac_f32_e32 v8, 0x3ed4b147, v51
	v_mul_f32_e32 v95, 0xbf0a6770, v55
	v_add_f32_e32 v6, v8, v6
	v_mov_b32_e32 v8, v95
	v_fmac_f32_e32 v8, 0x3f575c64, v54
	v_mul_f32_e32 v96, 0xbf4178ce, v58
	v_add_f32_e32 v6, v8, v6
	v_mov_b32_e32 v8, v96
	v_fmac_f32_e32 v8, 0xbf27a4f4, v57
	v_mul_f32_e32 v97, 0x3ed4b147, v14
	v_add_f32_e32 v6, v8, v6
	v_mov_b32_e32 v8, v97
	v_mul_f32_e32 v98, 0xbf27a4f4, v20
	v_fmac_f32_e32 v8, 0x3f68dda4, v22
	v_mov_b32_e32 v9, v98
	v_add_f32_e32 v8, v1, v8
	v_fmac_f32_e32 v9, 0x3f4178ce, v37
	v_mul_f32_e32 v99, 0xbf75a155, v40
	v_add_f32_e32 v8, v9, v8
	v_mov_b32_e32 v9, v99
	v_fmac_f32_e32 v9, 0xbe903f40, v30
	v_mul_f32_e32 v100, 0xbe11bafb, v10
	v_add_f32_e32 v8, v9, v8
	v_mov_b32_e32 v9, v100
	v_fmac_f32_e32 v9, 0xbf7d64f0, v28
	v_mul_f32_e32 v101, 0x3f575c64, v11
	v_add_f32_e32 v8, v9, v8
	v_mov_b32_e32 v9, v101
	v_fmac_f32_e32 v9, 0xbf0a6770, v26
	v_mul_f32_e32 v102, 0xbf68dda4, v46
	v_add_f32_e32 v9, v9, v8
	v_mov_b32_e32 v8, v102
	v_mul_f32_e32 v103, 0xbf4178ce, v49
	v_fmac_f32_e32 v8, 0x3ed4b147, v27
	v_mov_b32_e32 v104, v103
	v_add_f32_e32 v8, v0, v8
	v_fmac_f32_e32 v104, 0xbf27a4f4, v48
	v_add_f32_e32 v8, v104, v8
	v_mul_f32_e32 v104, 0x3e903f40, v52
	v_mov_b32_e32 v105, v104
	v_fmac_f32_e32 v105, 0xbf75a155, v51
	v_add_f32_e32 v8, v105, v8
	v_mul_f32_e32 v105, 0x3f7d64f0, v55
	v_mov_b32_e32 v106, v105
	;; [unrolled: 4-line block ×4, first 2 shown]
	v_mul_f32_e32 v108, 0x3ed4b147, v20
	v_fmac_f32_e32 v14, 0x3f0a6770, v22
	v_mov_b32_e32 v20, v108
	v_add_f32_e32 v14, v1, v14
	v_fmac_f32_e32 v20, 0x3f68dda4, v37
	v_mul_f32_e32 v40, 0xbe11bafb, v40
	v_add_f32_e32 v14, v20, v14
	v_mov_b32_e32 v20, v40
	v_mul_f32_e32 v109, 0xbf27a4f4, v10
	v_fmac_f32_e32 v20, 0x3f7d64f0, v30
	v_mov_b32_e32 v10, v109
	v_mul_f32_e32 v110, 0xbf75a155, v11
	v_add_f32_e32 v14, v20, v14
	v_fmac_f32_e32 v10, 0x3f4178ce, v28
	v_mov_b32_e32 v11, v110
	v_add_f32_e32 v10, v10, v14
	v_fmac_f32_e32 v11, 0x3e903f40, v26
	v_mul_f32_e32 v46, 0xbf0a6770, v46
	v_add_f32_e32 v11, v11, v10
	v_mov_b32_e32 v10, v46
	v_mul_f32_e32 v49, 0xbf68dda4, v49
	v_fmac_f32_e32 v10, 0x3f575c64, v27
	v_mov_b32_e32 v14, v49
	v_add_f32_e32 v10, v0, v10
	v_fmac_f32_e32 v14, 0x3ed4b147, v48
	v_mul_f32_e32 v52, 0xbf7d64f0, v52
	v_add_f32_e32 v10, v14, v10
	v_mov_b32_e32 v14, v52
	v_fmac_f32_e32 v14, 0xbe11bafb, v51
	v_mul_f32_e32 v55, 0xbf4178ce, v55
	v_add_f32_e32 v13, v13, v1
	v_add_f32_e32 v10, v14, v10
	v_mov_b32_e32 v14, v55
	v_add_f32_e32 v13, v19, v13
	v_fmac_f32_e32 v14, 0xbf27a4f4, v54
	v_mul_f32_e32 v58, 0xbe903f40, v58
	v_add_f32_e32 v13, v39, v13
	v_add_f32_e32 v10, v14, v10
	v_mov_b32_e32 v14, v58
	v_add_f32_e32 v13, v42, v13
	v_fmac_f32_e32 v14, 0xbf75a155, v57
	v_add_f32_e32 v13, v44, v13
	v_fmac_f32_e32 v15, 0xbe903f40, v22
	v_add_f32_e32 v10, v14, v10
	v_add_f32_e32 v13, v34, v13
	;; [unrolled: 1-line block ×3, first 2 shown]
	v_fmac_f32_e32 v21, 0x3f0a6770, v37
	v_add_f32_e32 v13, v32, v13
	v_add_f32_e32 v14, v21, v14
	v_fmac_f32_e32 v41, 0xbf4178ce, v30
	v_add_f32_e32 v13, v38, v13
	v_add_f32_e32 v14, v41, v14
	v_fmac_f32_e32 v43, 0x3f68dda4, v28
	s_mov_b32 s4, 0xbf75a155
	v_add_f32_e32 v13, v18, v13
	v_add_f32_e32 v14, v43, v14
	v_fmac_f32_e32 v45, 0xbf7d64f0, v26
	s_mov_b32 s5, 0x3f575c64
	v_add_f32_e32 v13, v12, v13
	v_add_f32_e32 v12, v0, v16
	v_add_f32_e32 v15, v45, v14
	v_fma_f32 v14, v27, s4, -v47
	s_mov_b32 s12, 0xbf27a4f4
	v_add_f32_e32 v12, v23, v12
	v_add_f32_e32 v14, v0, v14
	v_fma_f32 v16, v48, s5, -v50
	s_mov_b32 s13, 0x3ed4b147
	v_add_f32_e32 v12, v33, v12
	v_add_f32_e32 v14, v16, v14
	;; [unrolled: 4-line block ×3, first 2 shown]
	v_fma_f32 v16, v54, s13, -v56
	v_add_f32_e32 v12, v25, v12
	v_add_f32_e32 v14, v16, v14
	v_fma_f32 v16, v57, s14, -v59
	v_fmac_f32_e32 v60, 0xbf4178ce, v22
	v_add_f32_e32 v12, v24, v12
	v_add_f32_e32 v14, v16, v14
	v_add_f32_e32 v16, v1, v60
	v_fmac_f32_e32 v61, 0x3f7d64f0, v37
	v_add_f32_e32 v12, v29, v12
	v_add_f32_e32 v16, v61, v16
	v_fmac_f32_e32 v62, 0xbf0a6770, v30
	v_add_f32_e32 v12, v31, v12
	v_add_f32_e32 v16, v62, v16
	;; [unrolled: 3-line block ×4, first 2 shown]
	v_fma_f32 v16, v27, s12, -v80
	v_add_f32_e32 v16, v0, v16
	v_fma_f32 v18, v48, s14, -v81
	v_add_f32_e32 v16, v18, v16
	;; [unrolled: 2-line block ×4, first 2 shown]
	v_fma_f32 v18, v57, s13, -v86
	v_fmac_f32_e32 v87, 0xbf7d64f0, v22
	v_add_f32_e32 v16, v18, v16
	v_add_f32_e32 v18, v1, v87
	v_fmac_f32_e32 v88, 0x3e903f40, v37
	v_add_f32_e32 v18, v88, v18
	v_fmac_f32_e32 v89, 0x3f68dda4, v30
	;; [unrolled: 2-line block ×4, first 2 shown]
	v_add_f32_e32 v19, v91, v18
	v_fma_f32 v18, v27, s14, -v92
	v_add_f32_e32 v18, v0, v18
	v_fma_f32 v20, v48, s4, -v93
	;; [unrolled: 2-line block ×5, first 2 shown]
	v_fmac_f32_e32 v97, 0xbf68dda4, v22
	v_add_f32_e32 v18, v20, v18
	v_add_f32_e32 v20, v1, v97
	v_fmac_f32_e32 v98, 0xbf4178ce, v37
	v_add_f32_e32 v20, v98, v20
	v_fmac_f32_e32 v99, 0x3e903f40, v30
	;; [unrolled: 2-line block ×4, first 2 shown]
	v_add_f32_e32 v21, v101, v20
	v_fma_f32 v20, v27, s13, -v102
	v_add_f32_e32 v20, v0, v20
	v_fma_f32 v23, v48, s12, -v103
	v_fmac_f32_e32 v107, 0xbf0a6770, v22
	v_fma_f32 v22, v27, s5, -v46
	v_add_f32_e32 v20, v23, v20
	v_fma_f32 v23, v51, s4, -v104
	v_add_f32_e32 v1, v1, v107
	v_fmac_f32_e32 v108, 0xbf68dda4, v37
	v_add_f32_e32 v0, v0, v22
	v_fma_f32 v22, v48, s13, -v49
	ds_write2_b64 v83, v[12:13], v[10:11] offset1:147
	v_add_u32_e32 v10, 0x800, v83
	v_add_f32_e32 v20, v23, v20
	v_fma_f32 v23, v54, s14, -v105
	v_add_f32_e32 v1, v108, v1
	v_fmac_f32_e32 v40, 0xbf7d64f0, v30
	v_add_f32_e32 v0, v22, v0
	v_fma_f32 v22, v51, s14, -v52
	ds_write2_b64 v10, v[8:9], v[6:7] offset0:38 offset1:185
	v_add_u32_e32 v6, 0x1000, v83
	v_add_f32_e32 v20, v23, v20
	v_fma_f32 v23, v57, s5, -v106
	v_add_f32_e32 v1, v40, v1
	v_fmac_f32_e32 v109, 0xbf4178ce, v28
	v_add_f32_e32 v0, v22, v0
	v_fma_f32 v22, v54, s12, -v55
	ds_write2_b64 v6, v[4:5], v[2:3] offset0:76 offset1:223
	v_add_u32_e32 v2, 0x1a00, v83
	v_add_f32_e32 v20, v23, v20
	v_add_f32_e32 v1, v109, v1
	v_fmac_f32_e32 v110, 0xbe903f40, v26
	v_add_f32_e32 v0, v22, v0
	v_fma_f32 v22, v57, s4, -v58
	ds_write2_b64 v2, v[14:15], v[16:17] offset0:50 offset1:197
	v_add_u32_e32 v2, 0x2400, v83
	v_add_f32_e32 v1, v110, v1
	v_add_f32_e32 v0, v22, v0
	ds_write2_b64 v2, v[18:19], v[20:21] offset0:24 offset1:171
	ds_write_b64 v83, v[0:1] offset:11760
.LBB0_21:
	s_or_b64 exec, exec, s[2:3]
	s_waitcnt lgkmcnt(0)
	s_barrier
	ds_read2_b64 v[0:3], v83 offset1:231
	v_mad_u64_u32 v[8:9], s[2:3], s10, v66, 0
	s_mov_b32 s2, 0x929a339d
	s_mov_b32 s3, 0x3f4443c2
	s_waitcnt lgkmcnt(0)
	v_mul_f32_e32 v4, v78, v1
	v_fmac_f32_e32 v4, v77, v0
	v_cvt_f64_f32_e32 v[4:5], v4
	v_mul_f32_e32 v0, v78, v0
	v_fma_f32 v0, v77, v1, -v0
	v_cvt_f64_f32_e32 v[0:1], v0
	v_mul_f64 v[4:5], v[4:5], s[2:3]
	v_mad_u64_u32 v[10:11], s[4:5], s8, v84, 0
	v_mov_b32_e32 v6, v9
	v_mad_u64_u32 v[6:7], s[4:5], s11, v66, v[6:7]
	v_mul_f64 v[0:1], v[0:1], s[2:3]
	v_cvt_f32_f64_e32 v12, v[4:5]
	v_mov_b32_e32 v4, v11
	v_mad_u64_u32 v[14:15], s[4:5], s9, v84, v[4:5]
	v_add_u32_e32 v4, 0x1080, v83
	v_mov_b32_e32 v9, v6
	ds_read2_b64 v[4:7], v4 offset0:11 offset1:242
	v_cvt_f32_f64_e32 v13, v[0:1]
	v_lshlrev_b64 v[0:1], 3, v[8:9]
	v_mov_b32_e32 v11, v14
	v_mov_b32_e32 v14, s7
	s_waitcnt lgkmcnt(0)
	v_mul_f32_e32 v8, v76, v5
	v_fmac_f32_e32 v8, v75, v4
	v_mul_f32_e32 v4, v76, v4
	v_fma_f32 v4, v75, v5, -v4
	v_cvt_f64_f32_e32 v[8:9], v8
	v_cvt_f64_f32_e32 v[4:5], v4
	v_add_co_u32_e32 v15, vcc, s6, v0
	v_addc_co_u32_e32 v16, vcc, v14, v1, vcc
	v_mul_f64 v[0:1], v[8:9], s[2:3]
	v_mul_f64 v[4:5], v[4:5], s[2:3]
	v_lshlrev_b64 v[8:9], 3, v[10:11]
	s_mul_i32 s4, s9, 0x21b
	v_add_co_u32_e32 v14, vcc, v15, v8
	v_addc_co_u32_e32 v15, vcc, v16, v9, vcc
	v_cvt_f32_f64_e32 v0, v[0:1]
	v_cvt_f32_f64_e32 v1, v[4:5]
	v_add_u32_e32 v4, 0x2100, v83
	ds_read2_b64 v[8:11], v4 offset0:22 offset1:253
	s_mul_hi_u32 s5, s8, 0x21b
	s_add_i32 s5, s5, s4
	s_mul_i32 s4, s8, 0x21b
	s_lshl_b64 s[4:5], s[4:5], 3
	s_waitcnt lgkmcnt(0)
	v_mul_f32_e32 v4, v72, v9
	v_fmac_f32_e32 v4, v71, v8
	v_mul_f32_e32 v8, v72, v8
	v_fma_f32 v8, v71, v9, -v8
	v_cvt_f64_f32_e32 v[4:5], v4
	v_cvt_f64_f32_e32 v[8:9], v8
	global_store_dwordx2 v[14:15], v[12:13], off
	v_add_co_u32_e32 v12, vcc, s4, v14
	v_mul_f32_e32 v14, v74, v3
	v_fmac_f32_e32 v14, v73, v2
	v_mul_f32_e32 v2, v74, v2
	v_fma_f32 v2, v73, v3, -v2
	v_mul_f64 v[4:5], v[4:5], s[2:3]
	v_mul_f64 v[8:9], v[8:9], s[2:3]
	v_cvt_f64_f32_e32 v[2:3], v2
	v_mov_b32_e32 v16, s5
	v_addc_co_u32_e32 v13, vcc, v15, v16, vcc
	v_mul_f64 v[2:3], v[2:3], s[2:3]
	v_cvt_f64_f32_e32 v[14:15], v14
	global_store_dwordx2 v[12:13], v[0:1], off
	v_cvt_f32_f64_e32 v0, v[4:5]
	v_cvt_f32_f64_e32 v1, v[8:9]
	v_mul_f64 v[4:5], v[14:15], s[2:3]
	v_add_co_u32_e32 v8, vcc, s4, v12
	v_addc_co_u32_e32 v9, vcc, v13, v16, vcc
	global_store_dwordx2 v[8:9], v[0:1], off
	v_cvt_f32_f64_e32 v1, v[2:3]
	v_mul_f32_e32 v2, v70, v7
	v_fmac_f32_e32 v2, v69, v6
	v_cvt_f64_f32_e32 v[2:3], v2
	s_mul_hi_u32 s7, s8, 0xfffffcb1
	s_mul_i32 s6, s9, 0xfffffcb1
	s_sub_i32 s7, s7, s8
	s_add_i32 s7, s7, s6
	s_mul_i32 s6, s8, 0xfffffcb1
	v_cvt_f32_f64_e32 v0, v[4:5]
	s_lshl_b64 s[6:7], s[6:7], 3
	v_mul_f32_e32 v4, v70, v6
	v_mul_f64 v[2:3], v[2:3], s[2:3]
	v_fma_f32 v4, v69, v7, -v4
	v_add_co_u32_e32 v6, vcc, s6, v8
	v_mul_f32_e32 v8, v68, v11
	v_cvt_f64_f32_e32 v[4:5], v4
	v_fmac_f32_e32 v8, v67, v10
	v_mul_f32_e32 v10, v68, v10
	v_mov_b32_e32 v12, s7
	v_fma_f32 v10, v67, v11, -v10
	v_addc_co_u32_e32 v7, vcc, v9, v12, vcc
	v_cvt_f64_f32_e32 v[8:9], v8
	v_cvt_f64_f32_e32 v[10:11], v10
	v_mul_f64 v[4:5], v[4:5], s[2:3]
	global_store_dwordx2 v[6:7], v[0:1], off
	v_cvt_f32_f64_e32 v0, v[2:3]
	v_mul_f64 v[2:3], v[8:9], s[2:3]
	v_mul_f64 v[8:9], v[10:11], s[2:3]
	v_cvt_f32_f64_e32 v1, v[4:5]
	v_add_co_u32_e32 v4, vcc, s4, v6
	v_cvt_f32_f64_e32 v2, v[2:3]
	v_cvt_f32_f64_e32 v3, v[8:9]
	v_addc_co_u32_e32 v5, vcc, v7, v16, vcc
	global_store_dwordx2 v[4:5], v[0:1], off
	v_add_co_u32_e32 v0, vcc, s4, v4
	v_addc_co_u32_e32 v1, vcc, v5, v16, vcc
	global_store_dwordx2 v[0:1], v[2:3], off
	s_and_b64 exec, exec, s[0:1]
	s_cbranch_execz .LBB0_23
; %bb.22:
	s_movk_i32 s0, 0x1000
	v_add_co_u32_e32 v4, vcc, s0, v64
	global_load_dwordx2 v[2:3], v[64:65], off offset:3696
	v_addc_co_u32_e32 v5, vcc, 0, v65, vcc
	s_movk_i32 s0, 0x3000
	v_add_co_u32_e32 v6, vcc, s0, v64
	global_load_dwordx2 v[4:5], v[4:5], off offset:3912
	v_addc_co_u32_e32 v7, vcc, 0, v65, vcc
	global_load_dwordx2 v[6:7], v[6:7], off offset:32
	ds_read_b64 v[8:9], v83 offset:3696
	ds_read_b64 v[10:11], v83 offset:8008
	;; [unrolled: 1-line block ×3, first 2 shown]
	v_mov_b32_e32 v14, s7
	v_add_co_u32_e32 v0, vcc, s6, v0
	v_addc_co_u32_e32 v1, vcc, v1, v14, vcc
	v_mov_b32_e32 v16, s5
	s_waitcnt vmcnt(2) lgkmcnt(2)
	v_mul_f32_e32 v14, v9, v3
	v_mul_f32_e32 v3, v8, v3
	v_fmac_f32_e32 v14, v8, v2
	v_fma_f32 v8, v2, v9, -v3
	v_cvt_f64_f32_e32 v[2:3], v14
	v_cvt_f64_f32_e32 v[8:9], v8
	s_waitcnt vmcnt(1) lgkmcnt(1)
	v_mul_f32_e32 v14, v11, v5
	v_mul_f32_e32 v5, v10, v5
	v_fmac_f32_e32 v14, v10, v4
	s_waitcnt vmcnt(0) lgkmcnt(0)
	v_mul_f32_e32 v15, v13, v7
	v_mul_f32_e32 v7, v12, v7
	v_fma_f32 v10, v4, v11, -v5
	v_fmac_f32_e32 v15, v12, v6
	v_fma_f32 v12, v6, v13, -v7
	v_cvt_f64_f32_e32 v[4:5], v14
	v_cvt_f64_f32_e32 v[6:7], v10
	;; [unrolled: 1-line block ×4, first 2 shown]
	v_mul_f64 v[2:3], v[2:3], s[2:3]
	v_mul_f64 v[8:9], v[8:9], s[2:3]
	;; [unrolled: 1-line block ×6, first 2 shown]
	v_add_co_u32_e32 v14, vcc, s4, v0
	v_cvt_f32_f64_e32 v2, v[2:3]
	v_cvt_f32_f64_e32 v3, v[8:9]
	;; [unrolled: 1-line block ×4, first 2 shown]
	v_addc_co_u32_e32 v15, vcc, v1, v16, vcc
	v_cvt_f32_f64_e32 v6, v[10:11]
	v_cvt_f32_f64_e32 v7, v[12:13]
	v_add_co_u32_e32 v8, vcc, s4, v14
	v_addc_co_u32_e32 v9, vcc, v15, v16, vcc
	global_store_dwordx2 v[0:1], v[2:3], off
	global_store_dwordx2 v[14:15], v[4:5], off
	;; [unrolled: 1-line block ×3, first 2 shown]
.LBB0_23:
	s_endpgm
	.section	.rodata,"a",@progbits
	.p2align	6, 0x0
	.amdhsa_kernel bluestein_single_fwd_len1617_dim1_sp_op_CI_CI
		.amdhsa_group_segment_fixed_size 12936
		.amdhsa_private_segment_fixed_size 0
		.amdhsa_kernarg_size 104
		.amdhsa_user_sgpr_count 6
		.amdhsa_user_sgpr_private_segment_buffer 1
		.amdhsa_user_sgpr_dispatch_ptr 0
		.amdhsa_user_sgpr_queue_ptr 0
		.amdhsa_user_sgpr_kernarg_segment_ptr 1
		.amdhsa_user_sgpr_dispatch_id 0
		.amdhsa_user_sgpr_flat_scratch_init 0
		.amdhsa_user_sgpr_private_segment_size 0
		.amdhsa_uses_dynamic_stack 0
		.amdhsa_system_sgpr_private_segment_wavefront_offset 0
		.amdhsa_system_sgpr_workgroup_id_x 1
		.amdhsa_system_sgpr_workgroup_id_y 0
		.amdhsa_system_sgpr_workgroup_id_z 0
		.amdhsa_system_sgpr_workgroup_info 0
		.amdhsa_system_vgpr_workitem_id 0
		.amdhsa_next_free_vgpr 198
		.amdhsa_next_free_sgpr 20
		.amdhsa_reserve_vcc 1
		.amdhsa_reserve_flat_scratch 0
		.amdhsa_float_round_mode_32 0
		.amdhsa_float_round_mode_16_64 0
		.amdhsa_float_denorm_mode_32 3
		.amdhsa_float_denorm_mode_16_64 3
		.amdhsa_dx10_clamp 1
		.amdhsa_ieee_mode 1
		.amdhsa_fp16_overflow 0
		.amdhsa_exception_fp_ieee_invalid_op 0
		.amdhsa_exception_fp_denorm_src 0
		.amdhsa_exception_fp_ieee_div_zero 0
		.amdhsa_exception_fp_ieee_overflow 0
		.amdhsa_exception_fp_ieee_underflow 0
		.amdhsa_exception_fp_ieee_inexact 0
		.amdhsa_exception_int_div_zero 0
	.end_amdhsa_kernel
	.text
.Lfunc_end0:
	.size	bluestein_single_fwd_len1617_dim1_sp_op_CI_CI, .Lfunc_end0-bluestein_single_fwd_len1617_dim1_sp_op_CI_CI
                                        ; -- End function
	.section	.AMDGPU.csdata,"",@progbits
; Kernel info:
; codeLenInByte = 11008
; NumSgprs: 24
; NumVgprs: 198
; ScratchSize: 0
; MemoryBound: 0
; FloatMode: 240
; IeeeMode: 1
; LDSByteSize: 12936 bytes/workgroup (compile time only)
; SGPRBlocks: 2
; VGPRBlocks: 49
; NumSGPRsForWavesPerEU: 24
; NumVGPRsForWavesPerEU: 198
; Occupancy: 1
; WaveLimiterHint : 1
; COMPUTE_PGM_RSRC2:SCRATCH_EN: 0
; COMPUTE_PGM_RSRC2:USER_SGPR: 6
; COMPUTE_PGM_RSRC2:TRAP_HANDLER: 0
; COMPUTE_PGM_RSRC2:TGID_X_EN: 1
; COMPUTE_PGM_RSRC2:TGID_Y_EN: 0
; COMPUTE_PGM_RSRC2:TGID_Z_EN: 0
; COMPUTE_PGM_RSRC2:TIDIG_COMP_CNT: 0
	.type	__hip_cuid_9cf8011719583ad0,@object ; @__hip_cuid_9cf8011719583ad0
	.section	.bss,"aw",@nobits
	.globl	__hip_cuid_9cf8011719583ad0
__hip_cuid_9cf8011719583ad0:
	.byte	0                               ; 0x0
	.size	__hip_cuid_9cf8011719583ad0, 1

	.ident	"AMD clang version 19.0.0git (https://github.com/RadeonOpenCompute/llvm-project roc-6.4.0 25133 c7fe45cf4b819c5991fe208aaa96edf142730f1d)"
	.section	".note.GNU-stack","",@progbits
	.addrsig
	.addrsig_sym __hip_cuid_9cf8011719583ad0
	.amdgpu_metadata
---
amdhsa.kernels:
  - .args:
      - .actual_access:  read_only
        .address_space:  global
        .offset:         0
        .size:           8
        .value_kind:     global_buffer
      - .actual_access:  read_only
        .address_space:  global
        .offset:         8
        .size:           8
        .value_kind:     global_buffer
      - .actual_access:  read_only
        .address_space:  global
        .offset:         16
        .size:           8
        .value_kind:     global_buffer
      - .actual_access:  read_only
        .address_space:  global
        .offset:         24
        .size:           8
        .value_kind:     global_buffer
      - .actual_access:  read_only
        .address_space:  global
        .offset:         32
        .size:           8
        .value_kind:     global_buffer
      - .offset:         40
        .size:           8
        .value_kind:     by_value
      - .address_space:  global
        .offset:         48
        .size:           8
        .value_kind:     global_buffer
      - .address_space:  global
        .offset:         56
        .size:           8
        .value_kind:     global_buffer
      - .address_space:  global
        .offset:         64
        .size:           8
        .value_kind:     global_buffer
      - .address_space:  global
        .offset:         72
        .size:           8
        .value_kind:     global_buffer
      - .offset:         80
        .size:           4
        .value_kind:     by_value
      - .address_space:  global
        .offset:         88
        .size:           8
        .value_kind:     global_buffer
      - .address_space:  global
        .offset:         96
        .size:           8
        .value_kind:     global_buffer
    .group_segment_fixed_size: 12936
    .kernarg_segment_align: 8
    .kernarg_segment_size: 104
    .language:       OpenCL C
    .language_version:
      - 2
      - 0
    .max_flat_workgroup_size: 231
    .name:           bluestein_single_fwd_len1617_dim1_sp_op_CI_CI
    .private_segment_fixed_size: 0
    .sgpr_count:     24
    .sgpr_spill_count: 0
    .symbol:         bluestein_single_fwd_len1617_dim1_sp_op_CI_CI.kd
    .uniform_work_group_size: 1
    .uses_dynamic_stack: false
    .vgpr_count:     198
    .vgpr_spill_count: 0
    .wavefront_size: 64
amdhsa.target:   amdgcn-amd-amdhsa--gfx906
amdhsa.version:
  - 1
  - 2
...

	.end_amdgpu_metadata
